;; amdgpu-corpus repo=ROCm/rocFFT kind=compiled arch=gfx906 opt=O3
	.text
	.amdgcn_target "amdgcn-amd-amdhsa--gfx906"
	.amdhsa_code_object_version 6
	.protected	bluestein_single_back_len1224_dim1_sp_op_CI_CI ; -- Begin function bluestein_single_back_len1224_dim1_sp_op_CI_CI
	.globl	bluestein_single_back_len1224_dim1_sp_op_CI_CI
	.p2align	8
	.type	bluestein_single_back_len1224_dim1_sp_op_CI_CI,@function
bluestein_single_back_len1224_dim1_sp_op_CI_CI: ; @bluestein_single_back_len1224_dim1_sp_op_CI_CI
; %bb.0:
	s_load_dwordx4 s[0:3], s[4:5], 0x28
	v_mul_u32_u24_e32 v1, 0x283, v0
	v_lshrrev_b32_e32 v1, 16, v1
	v_lshl_add_u32 v172, s6, 1, v1
	v_mov_b32_e32 v173, 0
	s_waitcnt lgkmcnt(0)
	v_cmp_gt_u64_e32 vcc, s[0:1], v[172:173]
	s_and_saveexec_b64 s[0:1], vcc
	s_cbranch_execz .LBB0_15
; %bb.1:
	s_load_dwordx2 s[12:13], s[4:5], 0x0
	s_load_dwordx2 s[14:15], s[4:5], 0x38
	v_mul_lo_u16_e32 v2, 0x66, v1
	v_sub_u16_e32 v103, v0, v2
	v_and_b32_e32 v0, 1, v1
	v_mov_b32_e32 v1, 0x4c8
	v_cmp_eq_u32_e32 vcc, 1, v0
	v_cndmask_b32_e32 v40, 0, v1, vcc
	s_movk_i32 s0, 0x48
	v_cmp_gt_u16_e64 s[0:1], s0, v103
	v_lshlrev_b32_e32 v104, 3, v103
	v_lshlrev_b32_e32 v235, 3, v40
	s_and_saveexec_b64 s[6:7], s[0:1]
	s_cbranch_execz .LBB0_3
; %bb.2:
	s_load_dwordx2 s[8:9], s[4:5], 0x18
	v_or_b32_e32 v71, 0x480, v103
	s_waitcnt lgkmcnt(0)
	s_load_dwordx4 s[8:11], s[8:9], 0x0
	s_waitcnt lgkmcnt(0)
	v_mad_u64_u32 v[0:1], s[16:17], s10, v172, 0
	v_mad_u64_u32 v[2:3], s[16:17], s8, v103, 0
	;; [unrolled: 1-line block ×4, first 2 shown]
	v_mov_b32_e32 v1, v4
	v_lshlrev_b64 v[0:1], 3, v[0:1]
	v_mov_b32_e32 v3, v5
	v_mov_b32_e32 v6, s3
	v_lshlrev_b64 v[2:3], 3, v[2:3]
	v_add_co_u32_e32 v68, vcc, s2, v0
	v_addc_co_u32_e32 v69, vcc, v6, v1, vcc
	v_add_co_u32_e32 v0, vcc, v68, v2
	v_addc_co_u32_e32 v1, vcc, v69, v3, vcc
	v_mov_b32_e32 v2, s13
	v_add_co_u32_e32 v67, vcc, s12, v104
	s_mul_i32 s2, s9, 0x240
	s_mul_hi_u32 s3, s8, 0x240
	v_addc_co_u32_e32 v70, vcc, 0, v2, vcc
	s_add_i32 s3, s3, s2
	s_mul_i32 s2, s8, 0x240
	v_mov_b32_e32 v3, s3
	v_add_co_u32_e32 v2, vcc, s2, v0
	v_addc_co_u32_e32 v3, vcc, v1, v3, vcc
	v_mov_b32_e32 v5, s3
	v_add_co_u32_e32 v4, vcc, s2, v2
	v_addc_co_u32_e32 v5, vcc, v3, v5, vcc
	;; [unrolled: 3-line block ×3, first 2 shown]
	global_load_dwordx2 v[6:7], v104, s[12:13]
	global_load_dwordx2 v[8:9], v104, s[12:13] offset:576
	global_load_dwordx2 v[10:11], v104, s[12:13] offset:1152
	global_load_dwordx2 v[14:15], v[0:1], off
	global_load_dwordx2 v[16:17], v[2:3], off
	global_load_dwordx2 v[18:19], v[4:5], off
	global_load_dwordx2 v[20:21], v[12:13], off
	v_mov_b32_e32 v1, s3
	v_add_co_u32_e32 v0, vcc, s2, v12
	v_addc_co_u32_e32 v1, vcc, v13, v1, vcc
	global_load_dwordx2 v[2:3], v[0:1], off
	v_mov_b32_e32 v4, s3
	v_add_co_u32_e32 v0, vcc, s2, v0
	v_addc_co_u32_e32 v1, vcc, v1, v4, vcc
	global_load_dwordx2 v[4:5], v[0:1], off
	;; [unrolled: 4-line block ×3, first 2 shown]
	global_load_dwordx2 v[22:23], v104, s[12:13] offset:1728
	global_load_dwordx2 v[24:25], v104, s[12:13] offset:2304
	global_load_dwordx2 v[26:27], v104, s[12:13] offset:2880
	global_load_dwordx2 v[28:29], v104, s[12:13] offset:3456
	v_mov_b32_e32 v30, s3
	v_add_co_u32_e32 v0, vcc, s2, v0
	v_addc_co_u32_e32 v1, vcc, v1, v30, vcc
	global_load_dwordx2 v[30:31], v[0:1], off
	global_load_dwordx2 v[32:33], v104, s[12:13] offset:4032
	v_mov_b32_e32 v34, s3
	v_add_co_u32_e32 v0, vcc, s2, v0
	v_addc_co_u32_e32 v1, vcc, v1, v34, vcc
	s_movk_i32 s10, 0x1000
	v_add_co_u32_e32 v36, vcc, s10, v67
	v_addc_co_u32_e32 v37, vcc, 0, v70, vcc
	global_load_dwordx2 v[34:35], v[0:1], off
	v_mov_b32_e32 v38, s3
	v_add_co_u32_e32 v0, vcc, s2, v0
	v_addc_co_u32_e32 v1, vcc, v1, v38, vcc
	global_load_dwordx2 v[38:39], v[0:1], off
	v_mov_b32_e32 v41, s3
	;; [unrolled: 4-line block ×3, first 2 shown]
	v_add_co_u32_e32 v0, vcc, s2, v0
	v_addc_co_u32_e32 v1, vcc, v1, v43, vcc
	global_load_dwordx2 v[43:44], v[0:1], off
	global_load_dwordx2 v[45:46], v[36:37], off offset:512
	global_load_dwordx2 v[47:48], v[36:37], off offset:1088
	;; [unrolled: 1-line block ×4, first 2 shown]
	v_mov_b32_e32 v53, s3
	v_add_co_u32_e32 v0, vcc, s2, v0
	v_addc_co_u32_e32 v1, vcc, v1, v53, vcc
	global_load_dwordx2 v[53:54], v[0:1], off
	v_mov_b32_e32 v55, s3
	v_add_co_u32_e32 v0, vcc, s2, v0
	v_addc_co_u32_e32 v1, vcc, v1, v55, vcc
	global_load_dwordx2 v[55:56], v[0:1], off
	;; [unrolled: 4-line block ×3, first 2 shown]
	global_load_dwordx2 v[59:60], v[36:37], off offset:2816
	global_load_dwordx2 v[61:62], v[36:37], off offset:3392
	;; [unrolled: 1-line block ×3, first 2 shown]
	v_mad_u64_u32 v[36:37], s[10:11], s8, v71, 0
	v_mov_b32_e32 v65, s3
	v_add_co_u32_e32 v0, vcc, s2, v0
	v_addc_co_u32_e32 v1, vcc, v1, v65, vcc
	s_movk_i32 s8, 0x2000
	global_load_dwordx2 v[0:1], v[0:1], off
	s_waitcnt vmcnt(13)
	v_mad_u64_u32 v[65:66], s[2:3], s9, v71, v[37:38]
	v_add_co_u32_e32 v66, vcc, s8, v67
	v_mov_b32_e32 v37, v65
	v_lshlrev_b64 v[36:37], 3, v[36:37]
	v_addc_co_u32_e32 v67, vcc, 0, v70, vcc
	global_load_dwordx2 v[66:67], v[66:67], off offset:448
	v_add_co_u32_e32 v36, vcc, v68, v36
	v_addc_co_u32_e32 v37, vcc, v69, v37, vcc
	v_lshlrev_b32_e32 v65, 3, v71
	global_load_dwordx2 v[36:37], v[36:37], off
	v_mul_f32_e32 v70, v15, v7
	global_load_dwordx2 v[68:69], v65, s[12:13]
	v_mul_f32_e32 v7, v14, v7
	v_fmac_f32_e32 v70, v14, v6
	v_fma_f32 v71, v15, v6, -v7
	v_mul_f32_e32 v6, v17, v9
	v_mul_f32_e32 v7, v16, v9
	v_fmac_f32_e32 v6, v16, v8
	v_fma_f32 v7, v17, v8, -v7
	v_mul_f32_e32 v8, v19, v11
	v_mul_f32_e32 v9, v18, v11
	v_lshl_add_u32 v65, v103, 3, v235
	v_add_u32_e32 v14, v235, v104
	v_fmac_f32_e32 v8, v18, v10
	v_fma_f32 v9, v19, v10, -v9
	ds_write_b64 v65, v[70:71]
	ds_write2_b64 v14, v[6:7], v[8:9] offset0:72 offset1:144
	v_mul_f32_e32 v8, v3, v25
	v_mul_f32_e32 v6, v21, v23
	v_mul_f32_e32 v7, v20, v23
	v_fmac_f32_e32 v8, v2, v24
	v_mul_f32_e32 v2, v2, v25
	v_fmac_f32_e32 v6, v20, v22
	v_fma_f32 v7, v21, v22, -v7
	v_fma_f32 v9, v3, v24, -v2
	v_add_u32_e32 v2, 0x400, v14
	ds_write2_b64 v2, v[6:7], v[8:9] offset0:88 offset1:160
	v_mul_f32_e32 v2, v5, v27
	v_mul_f32_e32 v3, v4, v27
	v_fmac_f32_e32 v2, v4, v26
	v_fma_f32 v3, v5, v26, -v3
	v_mul_f32_e32 v4, v13, v29
	v_mul_f32_e32 v5, v12, v29
	v_fmac_f32_e32 v4, v12, v28
	v_fma_f32 v5, v13, v28, -v5
	v_add_u32_e32 v6, 0x800, v14
	ds_write2_b64 v6, v[2:3], v[4:5] offset0:104 offset1:176
	v_mul_f32_e32 v2, v31, v33
	v_mul_f32_e32 v3, v30, v33
	s_waitcnt vmcnt(13)
	v_mul_f32_e32 v4, v35, v46
	v_mul_f32_e32 v5, v34, v46
	v_fmac_f32_e32 v2, v30, v32
	v_fma_f32 v3, v31, v32, -v3
	v_fmac_f32_e32 v4, v34, v45
	v_fma_f32 v5, v35, v45, -v5
	v_add_u32_e32 v6, 0xc00, v14
	ds_write2_b64 v6, v[2:3], v[4:5] offset0:120 offset1:192
	s_waitcnt vmcnt(12)
	v_mul_f32_e32 v2, v39, v48
	v_mul_f32_e32 v3, v38, v48
	s_waitcnt vmcnt(11)
	v_mul_f32_e32 v4, v42, v50
	v_mul_f32_e32 v5, v41, v50
	v_fmac_f32_e32 v2, v38, v47
	v_fma_f32 v3, v39, v47, -v3
	v_fmac_f32_e32 v4, v41, v49
	v_fma_f32 v5, v42, v49, -v5
	v_add_u32_e32 v6, 0x1000, v14
	ds_write2_b64 v6, v[2:3], v[4:5] offset0:136 offset1:208
	s_waitcnt vmcnt(10)
	;; [unrolled: 12-line block ×3, first 2 shown]
	v_mul_f32_e32 v2, v56, v62
	v_mul_f32_e32 v3, v55, v62
	s_waitcnt vmcnt(4)
	v_mul_f32_e32 v4, v58, v64
	v_mul_f32_e32 v5, v57, v64
	v_fmac_f32_e32 v2, v55, v61
	v_fma_f32 v3, v56, v61, -v3
	v_fmac_f32_e32 v4, v57, v63
	v_fma_f32 v5, v58, v63, -v5
	ds_write2_b64 v6, v[2:3], v[4:5] offset0:168 offset1:240
	s_waitcnt vmcnt(2)
	v_mul_f32_e32 v2, v1, v67
	v_fmac_f32_e32 v2, v0, v66
	v_mul_f32_e32 v0, v0, v67
	v_fma_f32 v3, v1, v66, -v0
	v_add_u32_e32 v4, 0x2000, v14
	s_waitcnt vmcnt(0)
	v_mul_f32_e32 v0, v37, v69
	v_mul_f32_e32 v1, v36, v69
	v_fmac_f32_e32 v0, v36, v68
	v_fma_f32 v1, v37, v68, -v1
	ds_write2_b64 v4, v[2:3], v[0:1] offset0:56 offset1:128
.LBB0_3:
	s_or_b64 exec, exec, s[6:7]
	s_load_dwordx2 s[6:7], s[4:5], 0x20
	s_load_dwordx2 s[2:3], s[4:5], 0x8
	v_mov_b32_e32 v4, 0
	v_mov_b32_e32 v5, 0
	s_waitcnt lgkmcnt(0)
	s_barrier
	s_waitcnt lgkmcnt(0)
                                        ; implicit-def: $vgpr10
                                        ; implicit-def: $vgpr28
                                        ; implicit-def: $vgpr32
                                        ; implicit-def: $vgpr36
                                        ; implicit-def: $vgpr26
                                        ; implicit-def: $vgpr22
                                        ; implicit-def: $vgpr18
                                        ; implicit-def: $vgpr14
	s_and_saveexec_b64 s[4:5], s[0:1]
	s_cbranch_execz .LBB0_5
; %bb.4:
	v_lshl_add_u32 v0, v40, 3, v104
	v_add_u32_e32 v1, 0x800, v0
	ds_read2_b64 v[4:7], v0 offset1:72
	ds_read2_b64 v[12:15], v0 offset0:144 offset1:216
	ds_read2_b64 v[16:19], v1 offset0:32 offset1:104
	;; [unrolled: 1-line block ×3, first 2 shown]
	v_add_u32_e32 v1, 0x1000, v0
	ds_read2_b64 v[24:27], v1 offset0:64 offset1:136
	v_add_u32_e32 v1, 0x1400, v0
	ds_read2_b64 v[8:11], v1 offset0:80 offset1:152
	;; [unrolled: 2-line block ×4, first 2 shown]
	ds_read_b64 v[36:37], v0 offset:9216
.LBB0_5:
	s_or_b64 exec, exec, s[4:5]
	s_waitcnt lgkmcnt(0)
	v_sub_f32_e32 v63, v7, v37
	v_mul_f32_e32 v45, 0xbeb8f4ab, v63
	v_sub_f32_e32 v69, v13, v35
	v_add_f32_e32 v41, v36, v6
	v_sub_f32_e32 v68, v6, v36
	v_mov_b32_e32 v0, v45
	v_mul_f32_e32 v49, 0xbf2c7751, v69
	v_add_f32_e32 v42, v37, v7
	s_mov_b32 s8, 0x3f6eb680
	v_mul_f32_e32 v47, 0xbeb8f4ab, v68
	v_fmac_f32_e32 v0, 0x3f6eb680, v41
	v_add_f32_e32 v43, v34, v12
	v_sub_f32_e32 v80, v12, v34
	v_mov_b32_e32 v2, v49
	v_add_f32_e32 v0, v0, v4
	v_fma_f32 v1, v42, s8, -v47
	s_mov_b32 s9, 0x3f3d2fb0
	v_add_f32_e32 v44, v35, v13
	v_mul_f32_e32 v51, 0xbf2c7751, v80
	v_fmac_f32_e32 v2, 0x3f3d2fb0, v43
	v_sub_f32_e32 v81, v15, v33
	v_add_f32_e32 v1, v1, v5
	v_add_f32_e32 v0, v2, v0
	v_fma_f32 v2, v44, s9, -v51
	v_mul_f32_e32 v53, 0xbf65296c, v81
	v_add_f32_e32 v1, v2, v1
	v_add_f32_e32 v46, v32, v14
	v_sub_f32_e32 v84, v14, v32
	v_mov_b32_e32 v2, v53
	s_mov_b32 s10, 0x3ee437d1
	v_add_f32_e32 v48, v33, v15
	v_mul_f32_e32 v55, 0xbf65296c, v84
	v_fmac_f32_e32 v2, 0x3ee437d1, v46
	v_sub_f32_e32 v85, v17, v31
	v_add_f32_e32 v0, v2, v0
	v_fma_f32 v2, v48, s10, -v55
	v_mul_f32_e32 v57, 0xbf7ee86f, v85
	v_add_f32_e32 v1, v2, v1
	v_add_f32_e32 v50, v30, v16
	v_sub_f32_e32 v87, v16, v30
	v_mov_b32_e32 v2, v57
	s_mov_b32 s11, 0x3dbcf732
	v_add_f32_e32 v52, v31, v17
	v_mul_f32_e32 v59, 0xbf7ee86f, v87
	v_fmac_f32_e32 v2, 0x3dbcf732, v50
	v_sub_f32_e32 v88, v19, v29
	;; [unrolled: 12-line block ×5, first 2 shown]
	v_add_f32_e32 v0, v2, v0
	v_fma_f32 v2, v65, s19, -v82
	v_mul_f32_e32 v83, 0xbe3c28d5, v116
	v_add_f32_e32 v1, v2, v1
	v_add_f32_e32 v66, v26, v24
	v_mov_b32_e32 v2, v83
	v_sub_f32_e32 v128, v24, v26
	s_mov_b32 s17, 0xbf7ba420
	v_fmac_f32_e32 v2, 0xbf7ba420, v66
	v_add_f32_e32 v78, v27, v25
	v_mul_f32_e32 v86, 0xbe3c28d5, v128
	v_mul_f32_e32 v89, 0xbf2c7751, v63
	v_fma_f32 v3, v78, s17, -v86
	v_add_f32_e32 v2, v2, v0
	v_mov_b32_e32 v0, v89
	v_mul_f32_e32 v90, 0xbf7ee86f, v69
	v_add_f32_e32 v3, v3, v1
	v_fmac_f32_e32 v0, 0x3f3d2fb0, v41
	v_mov_b32_e32 v1, v90
	v_add_f32_e32 v0, v0, v4
	v_fmac_f32_e32 v1, 0x3dbcf732, v43
	v_mul_f32_e32 v95, 0xbf2c7751, v68
	v_add_f32_e32 v0, v1, v0
	v_fma_f32 v1, v42, s9, -v95
	v_mul_f32_e32 v96, 0xbf7ee86f, v80
	v_add_f32_e32 v1, v1, v5
	v_fma_f32 v38, v44, s11, -v96
	v_mul_f32_e32 v91, 0xbf4c4adb, v81
	v_add_f32_e32 v1, v38, v1
	v_mov_b32_e32 v38, v91
	v_fmac_f32_e32 v38, 0xbf1a4643, v46
	v_mul_f32_e32 v98, 0xbf4c4adb, v84
	v_add_f32_e32 v0, v38, v0
	v_fma_f32 v38, v48, s18, -v98
	v_mul_f32_e32 v92, 0xbe3c28d5, v85
	v_add_f32_e32 v1, v38, v1
	v_mov_b32_e32 v38, v92
	v_fmac_f32_e32 v38, 0xbf7ba420, v50
	v_mul_f32_e32 v101, 0xbe3c28d5, v87
	v_add_f32_e32 v0, v38, v0
	v_fma_f32 v38, v52, s17, -v101
	v_mul_f32_e32 v93, 0x3f06c442, v88
	v_add_f32_e32 v1, v38, v1
	v_mov_b32_e32 v38, v93
	v_fmac_f32_e32 v38, 0xbf59a7d5, v54
	v_mul_f32_e32 v106, 0x3f06c442, v94
	v_add_f32_e32 v0, v38, v0
	v_fma_f32 v38, v56, s19, -v106
	v_mul_f32_e32 v97, 0x3f763a35, v100
	v_add_f32_e32 v1, v38, v1
	v_mov_b32_e32 v38, v97
	v_fmac_f32_e32 v38, 0xbe8c1d8e, v58
	v_mul_f32_e32 v107, 0x3f763a35, v110
	v_add_f32_e32 v0, v38, v0
	v_fma_f32 v38, v60, s16, -v107
	v_mul_f32_e32 v99, 0x3f65296c, v111
	v_add_f32_e32 v1, v38, v1
	v_mov_b32_e32 v38, v99
	v_fmac_f32_e32 v38, 0x3ee437d1, v61
	v_mul_f32_e32 v108, 0x3f65296c, v114
	v_add_f32_e32 v0, v38, v0
	v_fma_f32 v38, v65, s10, -v108
	v_mul_f32_e32 v102, 0x3eb8f4ab, v116
	v_add_f32_e32 v1, v38, v1
	v_mov_b32_e32 v38, v102
	v_fmac_f32_e32 v38, 0x3f6eb680, v66
	v_mul_f32_e32 v109, 0x3eb8f4ab, v128
	v_add_f32_e32 v0, v38, v0
	v_fma_f32 v38, v78, s8, -v109
	v_mul_f32_e32 v112, 0xbf65296c, v63
	v_add_f32_e32 v1, v38, v1
	v_mov_b32_e32 v38, v112
	v_mul_f32_e32 v113, 0xbf4c4adb, v69
	v_fmac_f32_e32 v38, 0x3ee437d1, v41
	v_mov_b32_e32 v39, v113
	v_add_f32_e32 v38, v38, v4
	v_fmac_f32_e32 v39, 0xbf1a4643, v43
	v_mul_f32_e32 v119, 0xbf65296c, v68
	v_add_f32_e32 v38, v39, v38
	v_fma_f32 v39, v42, s10, -v119
	v_mul_f32_e32 v120, 0xbf4c4adb, v80
	v_add_f32_e32 v39, v39, v5
	v_fma_f32 v70, v44, s18, -v120
	v_mul_f32_e32 v115, 0x3e3c28d5, v81
	v_add_f32_e32 v39, v70, v39
	v_mov_b32_e32 v70, v115
	v_fmac_f32_e32 v70, 0xbf7ba420, v46
	v_mul_f32_e32 v122, 0x3e3c28d5, v84
	v_add_f32_e32 v38, v70, v38
	v_fma_f32 v70, v48, s17, -v122
	v_mul_f32_e32 v117, 0x3f763a35, v85
	v_add_f32_e32 v39, v70, v39
	v_mov_b32_e32 v70, v117
	v_fmac_f32_e32 v70, 0xbe8c1d8e, v50
	v_mul_f32_e32 v124, 0x3f763a35, v87
	v_add_f32_e32 v38, v70, v38
	v_fma_f32 v70, v52, s16, -v124
	v_mul_f32_e32 v118, 0x3f2c7751, v88
	v_add_f32_e32 v39, v70, v39
	v_mov_b32_e32 v70, v118
	v_fmac_f32_e32 v70, 0x3f3d2fb0, v54
	v_mul_f32_e32 v126, 0x3f2c7751, v94
	v_add_f32_e32 v38, v70, v38
	v_fma_f32 v70, v56, s9, -v126
	v_mul_f32_e32 v121, 0xbeb8f4ab, v100
	v_add_f32_e32 v39, v70, v39
	v_mov_b32_e32 v70, v121
	v_fmac_f32_e32 v70, 0x3f6eb680, v58
	v_mul_f32_e32 v127, 0xbeb8f4ab, v110
	v_add_f32_e32 v38, v70, v38
	v_fma_f32 v70, v60, s8, -v127
	v_mul_f32_e32 v123, 0xbf7ee86f, v111
	v_add_f32_e32 v39, v70, v39
	v_mov_b32_e32 v70, v123
	v_fmac_f32_e32 v70, 0x3dbcf732, v61
	v_mul_f32_e32 v129, 0xbf7ee86f, v114
	v_add_f32_e32 v38, v70, v38
	v_fma_f32 v70, v65, s11, -v129
	v_mul_f32_e32 v125, 0xbf06c442, v116
	v_add_f32_e32 v39, v70, v39
	v_mov_b32_e32 v70, v125
	v_fmac_f32_e32 v70, 0xbf59a7d5, v66
	v_mul_f32_e32 v130, 0xbf06c442, v128
	v_add_f32_e32 v70, v70, v38
	v_fma_f32 v38, v78, s19, -v130
	v_mul_f32_e32 v131, 0xbf7ee86f, v63
	v_add_f32_e32 v71, v38, v39
	v_mov_b32_e32 v38, v131
	v_mul_f32_e32 v132, 0xbe3c28d5, v69
	;; [unrolled: 56-line block ×3, first 2 shown]
	v_fmac_f32_e32 v38, 0xbe8c1d8e, v41
	v_mov_b32_e32 v39, v149
	v_add_f32_e32 v38, v38, v4
	v_fmac_f32_e32 v39, 0xbf59a7d5, v43
	v_mul_f32_e32 v153, 0xbf763a35, v68
	v_add_f32_e32 v38, v39, v38
	v_fma_f32 v39, v42, s16, -v153
	v_mul_f32_e32 v154, 0x3f06c442, v80
	v_add_f32_e32 v39, v39, v5
	v_fma_f32 v75, v44, s19, -v154
	v_mul_f32_e32 v150, 0x3f2c7751, v81
	v_add_f32_e32 v39, v75, v39
	v_mov_b32_e32 v75, v150
	v_fmac_f32_e32 v75, 0x3f3d2fb0, v46
	v_mul_f32_e32 v156, 0x3f2c7751, v84
	v_add_f32_e32 v38, v75, v38
	v_fma_f32 v75, v48, s9, -v156
	v_mul_f32_e32 v151, 0xbf65296c, v85
	v_add_f32_e32 v39, v75, v39
	v_mov_b32_e32 v75, v151
	v_fmac_f32_e32 v75, 0x3ee437d1, v50
	;; [unrolled: 7-line block ×6, first 2 shown]
	v_mul_f32_e32 v163, 0xbf4c4adb, v128
	v_add_f32_e32 v75, v75, v38
	v_fma_f32 v38, v78, s18, -v163
	v_add_f32_e32 v76, v38, v39
	s_barrier
	s_and_saveexec_b64 s[4:5], s[0:1]
	s_cbranch_execz .LBB0_7
; %bb.6:
	v_mul_f32_e32 v168, 0xbf59a7d5, v42
	v_mov_b32_e32 v38, v168
	v_mul_f32_e32 v169, 0x3ee437d1, v44
	v_fmac_f32_e32 v38, 0x3f06c442, v68
	v_mov_b32_e32 v39, v169
	v_add_f32_e32 v38, v38, v5
	v_fmac_f32_e32 v39, 0xbf65296c, v80
	v_mul_f32_e32 v170, 0x3dbcf732, v48
	v_add_f32_e32 v38, v39, v38
	v_mov_b32_e32 v39, v170
	v_fmac_f32_e32 v39, 0x3f7ee86f, v84
	v_mul_f32_e32 v171, 0xbf1a4643, v52
	v_add_f32_e32 v38, v39, v38
	v_mov_b32_e32 v39, v171
	;; [unrolled: 4-line block ×7, first 2 shown]
	v_mul_f32_e32 v230, 0x3f65296c, v69
	v_fmac_f32_e32 v38, 0xbf59a7d5, v41
	v_mov_b32_e32 v164, v230
	v_add_f32_e32 v38, v38, v4
	v_fmac_f32_e32 v164, 0x3ee437d1, v43
	v_mul_f32_e32 v231, 0xbf7ee86f, v81
	v_add_f32_e32 v38, v164, v38
	v_mov_b32_e32 v164, v231
	v_fmac_f32_e32 v164, 0x3dbcf732, v46
	v_mul_f32_e32 v232, 0x3f4c4adb, v85
	v_add_f32_e32 v38, v164, v38
	v_mov_b32_e32 v164, v232
	;; [unrolled: 4-line block ×4, first 2 shown]
	v_fmac_f32_e32 v164, 0xbf7ba420, v58
	v_mov_b32_e32 v139, v235
	v_mul_f32_e32 v235, 0x3f2c7751, v111
	v_add_f32_e32 v38, v164, v38
	v_mov_b32_e32 v164, v235
	v_fmac_f32_e32 v164, 0x3f3d2fb0, v61
	v_mul_f32_e32 v236, 0xbf763a35, v116
	v_add_f32_e32 v38, v164, v38
	v_mov_b32_e32 v164, v236
	v_fmac_f32_e32 v164, 0xbe8c1d8e, v66
	v_mul_f32_e32 v166, 0xbf7ba420, v42
	v_add_f32_e32 v38, v164, v38
	v_mov_b32_e32 v164, v166
	v_mul_f32_e32 v167, 0x3f6eb680, v44
	v_fmac_f32_e32 v164, 0x3e3c28d5, v68
	v_mov_b32_e32 v165, v167
	v_add_f32_e32 v164, v164, v5
	v_fmac_f32_e32 v165, 0xbeb8f4ab, v80
	v_mul_f32_e32 v237, 0xbf59a7d5, v48
	v_add_f32_e32 v164, v165, v164
	v_mov_b32_e32 v165, v237
	v_fmac_f32_e32 v165, 0x3f06c442, v84
	v_mul_f32_e32 v238, 0x3f3d2fb0, v52
	v_fmac_f32_e32 v168, 0xbf06c442, v68
	v_add_f32_e32 v164, v165, v164
	v_mov_b32_e32 v165, v238
	v_add_f32_e32 v168, v168, v5
	v_fmac_f32_e32 v169, 0x3f65296c, v80
	v_fmac_f32_e32 v165, 0xbf2c7751, v87
	v_mul_f32_e32 v239, 0xbf1a4643, v56
	v_add_f32_e32 v168, v169, v168
	v_fmac_f32_e32 v170, 0xbf7ee86f, v84
	v_add_f32_e32 v164, v165, v164
	v_mov_b32_e32 v165, v239
	v_add_f32_e32 v168, v170, v168
	v_fmac_f32_e32 v171, 0x3f4c4adb, v87
	v_fma_f32 v169, v41, s19, -v229
	v_fmac_f32_e32 v165, 0x3f4c4adb, v94
	v_mul_f32_e32 v240, 0x3ee437d1, v60
	v_add_f32_e32 v168, v171, v168
	v_fmac_f32_e32 v225, 0xbeb8f4ab, v94
	v_add_f32_e32 v169, v169, v4
	v_fma_f32 v170, v43, s10, -v230
	v_add_f32_e32 v164, v165, v164
	v_mov_b32_e32 v165, v240
	v_add_f32_e32 v168, v225, v168
	v_fmac_f32_e32 v226, 0xbe3c28d5, v110
	v_add_f32_e32 v169, v170, v169
	v_fma_f32 v170, v46, s11, -v231
	v_fmac_f32_e32 v165, 0xbf65296c, v110
	v_mul_f32_e32 v241, 0xbe8c1d8e, v65
	v_add_f32_e32 v168, v226, v168
	v_fmac_f32_e32 v227, 0x3f2c7751, v114
	v_add_f32_e32 v169, v170, v169
	v_fma_f32 v170, v50, s18, -v232
	v_add_f32_e32 v164, v165, v164
	v_mov_b32_e32 v165, v241
	v_add_f32_e32 v168, v227, v168
	v_add_f32_e32 v169, v170, v169
	v_fma_f32 v170, v54, s8, -v233
	v_fmac_f32_e32 v228, 0xbf763a35, v128
	v_fmac_f32_e32 v165, 0x3f763a35, v114
	v_mul_f32_e32 v242, 0x3dbcf732, v78
	v_add_f32_e32 v170, v170, v169
	v_add_f32_e32 v169, v228, v168
	v_mul_f32_e32 v228, 0xbf4c4adb, v68
	v_add_f32_e32 v164, v165, v164
	v_mov_b32_e32 v165, v242
	v_fmac_f32_e32 v166, 0xbe3c28d5, v68
	v_mov_b32_e32 v68, v228
	v_mul_f32_e32 v233, 0x3f763a35, v80
	v_fmac_f32_e32 v165, 0xbf7ee86f, v128
	v_mul_f32_e32 v243, 0xbe3c28d5, v63
	v_fmac_f32_e32 v167, 0x3eb8f4ab, v80
	v_fmac_f32_e32 v68, 0xbf1a4643, v42
	v_mov_b32_e32 v80, v233
	v_add_f32_e32 v165, v165, v164
	v_mov_b32_e32 v164, v243
	v_mul_f32_e32 v244, 0x3eb8f4ab, v69
	v_fma_f32 v168, v58, s17, -v234
	v_add_f32_e32 v68, v68, v5
	v_fmac_f32_e32 v80, 0xbe8c1d8e, v44
	v_mul_f32_e32 v234, 0xbeb8f4ab, v84
	v_fmac_f32_e32 v164, 0xbf7ba420, v41
	v_mov_b32_e32 v245, v244
	v_add_f32_e32 v68, v80, v68
	v_mov_b32_e32 v80, v234
	v_add_f32_e32 v164, v164, v4
	v_fmac_f32_e32 v245, 0x3f6eb680, v43
	v_add_f32_e32 v168, v168, v170
	v_fma_f32 v170, v61, s9, -v235
	v_fmac_f32_e32 v80, 0x3f6eb680, v48
	v_mul_f32_e32 v235, 0xbf06c442, v87
	v_add_f32_e32 v164, v245, v164
	v_mul_f32_e32 v245, 0xbf06c442, v81
	v_add_f32_e32 v68, v80, v68
	v_mov_b32_e32 v80, v235
	v_mov_b32_e32 v246, v245
	v_fmac_f32_e32 v239, 0xbf4c4adb, v94
	v_fmac_f32_e32 v80, 0xbf59a7d5, v52
	v_mul_f32_e32 v94, 0x3f7ee86f, v94
	v_fmac_f32_e32 v246, 0xbf59a7d5, v46
	v_add_f32_e32 v68, v80, v68
	v_mov_b32_e32 v80, v94
	v_add_f32_e32 v164, v246, v164
	v_mul_f32_e32 v246, 0x3f2c7751, v85
	v_fmac_f32_e32 v240, 0x3f65296c, v110
	v_fmac_f32_e32 v80, 0x3dbcf732, v56
	v_mul_f32_e32 v110, 0xbf2c7751, v110
	v_mov_b32_e32 v247, v246
	v_add_f32_e32 v68, v80, v68
	v_mov_b32_e32 v80, v110
	v_fmac_f32_e32 v247, 0x3f3d2fb0, v50
	v_fmac_f32_e32 v241, 0xbf763a35, v114
	;; [unrolled: 1-line block ×3, first 2 shown]
	v_mul_f32_e32 v114, 0xbe3c28d5, v114
	v_add_f32_e32 v164, v247, v164
	v_mul_f32_e32 v247, 0xbf4c4adb, v88
	v_add_f32_e32 v68, v80, v68
	v_mov_b32_e32 v80, v114
	v_mov_b32_e32 v248, v247
	v_fmac_f32_e32 v242, 0x3f7ee86f, v128
	v_fmac_f32_e32 v80, 0xbf7ba420, v65
	v_mul_f32_e32 v128, 0x3f65296c, v128
	v_fmac_f32_e32 v248, 0xbf1a4643, v54
	v_add_f32_e32 v168, v170, v168
	v_fma_f32 v170, v66, s16, -v236
	v_add_f32_e32 v68, v80, v68
	v_mov_b32_e32 v80, v128
	v_mul_f32_e32 v236, 0xbf4c4adb, v63
	v_add_f32_e32 v164, v248, v164
	v_mul_f32_e32 v248, 0x3f65296c, v100
	v_fmac_f32_e32 v80, 0x3ee437d1, v78
	v_fma_f32 v63, v41, s18, -v236
	v_mul_f32_e32 v105, 0x3f763a35, v69
	v_mov_b32_e32 v249, v248
	v_add_f32_e32 v171, v80, v68
	v_add_f32_e32 v63, v63, v4
	v_fma_f32 v68, v43, s16, -v105
	v_mul_f32_e32 v72, 0xbeb8f4ab, v81
	v_fmac_f32_e32 v249, 0x3ee437d1, v58
	v_add_f32_e32 v63, v68, v63
	v_fma_f32 v68, v46, s8, -v72
	v_mul_f32_e32 v181, 0xbf06c442, v85
	v_add_f32_e32 v164, v249, v164
	v_mul_f32_e32 v249, 0xbf763a35, v111
	v_add_f32_e32 v63, v68, v63
	v_fma_f32 v68, v50, s19, -v181
	v_mul_f32_e32 v191, 0x3f7ee86f, v88
	v_mov_b32_e32 v250, v249
	v_add_f32_e32 v166, v166, v5
	v_add_f32_e32 v63, v68, v63
	v_fma_f32 v68, v54, s11, -v191
	v_mul_f32_e32 v100, 0xbf2c7751, v100
	v_fmac_f32_e32 v250, 0xbe8c1d8e, v61
	v_add_f32_e32 v166, v167, v166
	v_fma_f32 v167, v41, s17, -v243
	v_add_f32_e32 v63, v68, v63
	v_fma_f32 v68, v58, s9, -v100
	v_mul_f32_e32 v111, 0xbe3c28d5, v111
	v_add_f32_e32 v164, v250, v164
	v_mul_f32_e32 v250, 0x3f7ee86f, v116
	v_fmac_f32_e32 v237, 0xbf06c442, v84
	v_add_f32_e32 v167, v167, v4
	v_fma_f32 v243, v43, s8, -v244
	v_add_f32_e32 v63, v68, v63
	v_fma_f32 v68, v61, s17, -v111
	v_mul_f32_e32 v116, 0x3f65296c, v116
	v_mul_f32_e32 v180, 0xbe8c1d8e, v42
	v_add_f32_e32 v166, v237, v166
	v_fmac_f32_e32 v238, 0x3f2c7751, v87
	v_add_f32_e32 v167, v243, v167
	v_fma_f32 v244, v46, s19, -v245
	v_add_f32_e32 v63, v68, v63
	v_fma_f32 v68, v66, s10, -v116
	v_mul_f32_e32 v190, 0xbf59a7d5, v44
	v_add_f32_e32 v166, v238, v166
	v_add_f32_e32 v167, v244, v167
	v_fma_f32 v245, v50, s9, -v246
	v_add_f32_e32 v168, v170, v168
	v_add_f32_e32 v170, v68, v63
	;; [unrolled: 1-line block ×3, first 2 shown]
	v_mul_f32_e32 v200, 0x3f3d2fb0, v48
	v_add_f32_e32 v166, v239, v166
	v_add_f32_e32 v167, v245, v167
	v_fma_f32 v246, v54, s18, -v247
	v_add_f32_e32 v63, v63, v5
	v_add_f32_e32 v68, v154, v190
	v_mul_f32_e32 v210, 0x3ee437d1, v52
	v_add_f32_e32 v166, v240, v166
	v_add_f32_e32 v167, v246, v167
	v_fma_f32 v247, v58, s10, -v248
	v_add_f32_e32 v63, v68, v63
	v_add_f32_e32 v68, v156, v200
	v_mul_f32_e32 v220, 0xbf7ba420, v56
	v_add_f32_e32 v166, v241, v166
	v_add_f32_e32 v167, v247, v167
	v_fma_f32 v248, v61, s16, -v249
	v_add_f32_e32 v63, v68, v63
	v_add_f32_e32 v68, v158, v210
	v_mul_f32_e32 v239, 0x3dbcf732, v60
	v_add_f32_e32 v248, v248, v167
	v_add_f32_e32 v167, v242, v166
	v_fma_f32 v166, v66, s11, -v250
	v_add_f32_e32 v63, v68, v63
	v_add_f32_e32 v68, v160, v220
	v_add_f32_e32 v166, v166, v248
	v_mul_f32_e32 v248, 0x3f6eb680, v65
	v_add_f32_e32 v63, v68, v63
	v_add_f32_e32 v68, v161, v239
	v_mul_f32_e32 v232, 0xbf1a4643, v78
	v_add_f32_e32 v63, v68, v63
	;; [unrolled: 3-line block ×4, first 2 shown]
	v_sub_f32_e32 v63, v179, v148
	v_mul_f32_e32 v199, 0x3f3d2fb0, v46
	v_add_f32_e32 v63, v63, v4
	v_sub_f32_e32 v68, v189, v149
	v_mul_f32_e32 v209, 0x3ee437d1, v50
	v_add_f32_e32 v63, v68, v63
	;; [unrolled: 3-line block ×8, first 2 shown]
	v_add_f32_e32 v63, v136, v178
	v_mul_f32_e32 v198, 0xbe8c1d8e, v48
	v_add_f32_e32 v63, v63, v5
	v_add_f32_e32 v80, v137, v188
	v_mul_f32_e32 v208, 0x3f6eb680, v52
	v_add_f32_e32 v63, v80, v63
	;; [unrolled: 3-line block ×8, first 2 shown]
	v_sub_f32_e32 v63, v177, v131
	v_mul_f32_e32 v197, 0xbe8c1d8e, v46
	v_add_f32_e32 v63, v63, v4
	v_sub_f32_e32 v80, v187, v132
	v_mul_f32_e32 v207, 0x3f6eb680, v50
	v_add_f32_e32 v63, v80, v63
	;; [unrolled: 3-line block ×8, first 2 shown]
	v_add_f32_e32 v63, v119, v176
	v_mul_f32_e32 v196, 0xbf7ba420, v48
	v_add_f32_e32 v63, v63, v5
	v_add_f32_e32 v84, v120, v186
	v_mul_f32_e32 v206, 0xbe8c1d8e, v52
	v_add_f32_e32 v63, v84, v63
	;; [unrolled: 3-line block ×8, first 2 shown]
	v_sub_f32_e32 v63, v175, v112
	v_mul_f32_e32 v195, 0xbf7ba420, v46
	v_add_f32_e32 v63, v63, v4
	v_sub_f32_e32 v84, v185, v113
	v_mul_f32_e32 v205, 0xbe8c1d8e, v50
	v_mov_b32_e32 v251, v250
	v_add_f32_e32 v63, v84, v63
	v_sub_f32_e32 v84, v195, v115
	v_mul_f32_e32 v215, 0x3f3d2fb0, v54
	v_fmac_f32_e32 v251, 0x3dbcf732, v66
	v_add_f32_e32 v63, v84, v63
	v_sub_f32_e32 v84, v205, v117
	v_add_f32_e32 v164, v251, v164
	v_mul_f32_e32 v251, 0x3f6eb680, v58
	v_add_f32_e32 v63, v84, v63
	v_sub_f32_e32 v84, v215, v118
	v_mul_f32_e32 v245, 0x3dbcf732, v61
	v_add_f32_e32 v63, v84, v63
	v_sub_f32_e32 v84, v251, v121
	;; [unrolled: 3-line block ×4, first 2 shown]
	v_mul_f32_e32 v184, 0x3dbcf732, v44
	v_add_f32_e32 v84, v84, v63
	v_add_f32_e32 v63, v95, v174
	v_mul_f32_e32 v194, 0xbf1a4643, v48
	v_add_f32_e32 v63, v63, v5
	v_add_f32_e32 v87, v96, v184
	;; [unrolled: 3-line block ×8, first 2 shown]
	v_mul_f32_e32 v183, 0x3dbcf732, v43
	v_add_f32_e32 v88, v87, v63
	v_sub_f32_e32 v63, v173, v89
	v_mul_f32_e32 v193, 0xbf1a4643, v46
	v_add_f32_e32 v63, v63, v4
	v_sub_f32_e32 v87, v183, v90
	;; [unrolled: 3-line block ×7, first 2 shown]
	v_add_f32_e32 v63, v87, v63
	v_sub_f32_e32 v87, v255, v102
	v_add_f32_e32 v87, v87, v63
	v_mul_f32_e32 v63, 0x3f6eb680, v42
	v_mul_f32_e32 v192, 0x3f3d2fb0, v44
	v_add_f32_e32 v47, v47, v63
	v_add_f32_e32 v6, v6, v4
	v_mul_f32_e32 v182, 0x3ee437d1, v48
	v_add_f32_e32 v47, v47, v5
	v_add_f32_e32 v51, v51, v192
	v_add_f32_e32 v6, v12, v6
	v_mul_f32_e32 v202, 0x3dbcf732, v52
	v_add_f32_e32 v47, v51, v47
	;; [unrolled: 4-line block ×3, first 2 shown]
	v_add_f32_e32 v51, v59, v202
	v_add_f32_e32 v7, v7, v5
	v_add_f32_e32 v6, v16, v6
	v_mul_f32_e32 v222, 0xbf1a4643, v60
	v_add_f32_e32 v47, v51, v47
	v_add_f32_e32 v51, v64, v212
	v_add_f32_e32 v7, v13, v7
	v_add_f32_e32 v6, v18, v6
	v_mul_f32_e32 v241, 0xbf59a7d5, v65
	v_add_f32_e32 v47, v51, v47
	;; [unrolled: 5-line block ×3, first 2 shown]
	v_add_f32_e32 v51, v82, v241
	v_add_f32_e32 v7, v17, v7
	;; [unrolled: 1-line block ×8, first 2 shown]
	v_mul_f32_e32 v47, 0x3f6eb680, v41
	v_add_f32_e32 v7, v21, v7
	v_add_f32_e32 v6, v26, v6
	v_sub_f32_e32 v45, v47, v45
	v_mul_f32_e32 v47, 0x3f3d2fb0, v43
	v_add_f32_e32 v7, v23, v7
	v_add_f32_e32 v6, v8, v6
	v_fma_f32 v8, v42, s18, -v228
	v_add_f32_e32 v45, v45, v4
	v_sub_f32_e32 v47, v47, v49
	v_add_f32_e32 v7, v25, v7
	v_add_f32_e32 v5, v8, v5
	v_fma_f32 v8, v44, s16, -v233
	v_add_f32_e32 v45, v47, v45
	v_mul_f32_e32 v47, 0x3ee437d1, v46
	v_add_f32_e32 v7, v27, v7
	v_add_f32_e32 v5, v8, v5
	v_fma_f32 v8, v48, s8, -v234
	v_fmac_f32_e32 v236, 0xbf1a4643, v41
	v_mul_f32_e32 v201, 0x3dbcf732, v50
	v_sub_f32_e32 v47, v47, v53
	v_add_f32_e32 v7, v9, v7
	v_add_f32_e32 v5, v8, v5
	v_fma_f32 v8, v52, s19, -v235
	v_add_f32_e32 v4, v236, v4
	v_fmac_f32_e32 v105, 0xbe8c1d8e, v43
	v_mul_f32_e32 v211, 0xbe8c1d8e, v54
	v_add_f32_e32 v45, v47, v45
	v_sub_f32_e32 v47, v201, v57
	v_add_f32_e32 v7, v11, v7
	v_add_f32_e32 v6, v10, v6
	v_add_f32_e32 v5, v8, v5
	v_fma_f32 v8, v56, s11, -v94
	v_add_f32_e32 v4, v105, v4
	v_fmac_f32_e32 v72, 0x3f6eb680, v46
	v_mul_f32_e32 v221, 0xbf1a4643, v58
	v_add_f32_e32 v45, v47, v45
	v_sub_f32_e32 v47, v211, v62
	v_add_f32_e32 v7, v29, v7
	;; [unrolled: 9-line block ×4, first 2 shown]
	v_add_f32_e32 v6, v32, v6
	v_add_f32_e32 v5, v8, v5
	v_fma_f32 v8, v78, s10, -v128
	v_add_f32_e32 v4, v191, v4
	v_fmac_f32_e32 v100, 0x3f3d2fb0, v58
	v_add_f32_e32 v45, v47, v45
	v_sub_f32_e32 v47, v250, v83
	v_add_f32_e32 v7, v35, v7
	v_add_f32_e32 v6, v34, v6
	;; [unrolled: 1-line block ×4, first 2 shown]
	v_fmac_f32_e32 v111, 0xbf7ba420, v61
	v_mul_lo_u16_e32 v8, 17, v103
	v_add_f32_e32 v62, v47, v45
	v_add_f32_e32 v7, v37, v7
	;; [unrolled: 1-line block ×3, first 2 shown]
	v_mov_b32_e32 v235, v139
	v_add_f32_e32 v4, v111, v4
	v_fmac_f32_e32 v116, 0x3ee437d1, v66
	v_add_lshl_u32 v8, v40, v8, 3
	v_add_f32_e32 v4, v116, v4
	ds_write2_b64 v8, v[6:7], v[62:63] offset1:1
	ds_write2_b64 v8, v[87:88], v[84:85] offset0:2 offset1:3
	ds_write2_b64 v8, v[80:81], v[68:69] offset0:4 offset1:5
	;; [unrolled: 1-line block ×7, first 2 shown]
	ds_write_b64 v8, v[2:3] offset:128
.LBB0_7:
	s_or_b64 exec, exec, s[4:5]
	s_movk_i32 s8, 0xf1
	v_add_u16_e32 v47, 0x66, v103
	v_mul_lo_u16_sdwa v4, v103, s8 dst_sel:DWORD dst_unused:UNUSED_PAD src0_sel:BYTE_0 src1_sel:DWORD
	v_mul_lo_u16_sdwa v6, v47, s8 dst_sel:DWORD dst_unused:UNUSED_PAD src0_sel:BYTE_0 src1_sel:DWORD
	s_movk_i32 s8, 0x132
	s_mov_b32 s9, 0xf0f1
	v_add_co_u32_e32 v16, vcc, s8, v103
	v_mul_u32_u24_sdwa v17, v16, s9 dst_sel:DWORD dst_unused:UNUSED_PAD src0_sel:WORD_0 src1_sel:DWORD
	v_lshrrev_b32_e32 v53, 20, v17
	v_lshrrev_b16_e32 v45, 12, v4
	v_mul_lo_u16_e32 v17, 17, v53
	v_mul_lo_u16_e32 v4, 17, v45
	v_add_co_u32_e32 v50, vcc, 0xcc, v103
	v_sub_u16_e32 v54, v16, v17
	v_sub_u16_e32 v46, v103, v4
	v_mov_b32_e32 v4, 4
	v_mul_u32_u24_sdwa v12, v50, s9 dst_sel:DWORD dst_unused:UNUSED_PAD src0_sel:WORD_0 src1_sel:DWORD
	v_lshlrev_b16_e32 v16, 1, v54
	v_lshlrev_b32_sdwa v5, v4, v46 dst_sel:DWORD dst_unused:UNUSED_PAD src0_sel:DWORD src1_sel:BYTE_0
	v_lshrrev_b16_e32 v48, 12, v6
	v_lshrrev_b32_e32 v51, 20, v12
	v_lshlrev_b32_e32 v16, 3, v16
	s_load_dwordx4 s[4:7], s[6:7], 0x0
	s_waitcnt lgkmcnt(0)
	s_barrier
	global_load_dwordx4 v[8:11], v5, s[2:3]
	v_mul_lo_u16_e32 v12, 17, v51
	global_load_dwordx4 v[16:19], v16, s[2:3]
	v_mul_lo_u16_e32 v5, 17, v48
	v_sub_u16_e32 v49, v47, v5
	v_sub_u16_e32 v52, v50, v12
	v_lshlrev_b32_sdwa v4, v4, v49 dst_sel:DWORD dst_unused:UNUSED_PAD src0_sel:DWORD src1_sel:BYTE_0
	v_lshlrev_b16_e32 v12, 1, v52
	global_load_dwordx4 v[4:7], v4, s[2:3]
	v_lshlrev_b32_e32 v12, 3, v12
	global_load_dwordx4 v[12:15], v12, s[2:3]
	v_add_lshl_u32 v107, v40, v103, 3
	v_add_u32_e32 v57, 0x800, v107
	ds_read2_b64 v[20:23], v107 offset1:102
	v_add_u32_e32 v60, 0x1800, v107
	v_add_u32_e32 v58, 0x400, v107
	;; [unrolled: 1-line block ×4, first 2 shown]
	ds_read2_b64 v[24:27], v57 offset0:152 offset1:254
	ds_read2_b64 v[28:31], v60 offset0:48 offset1:150
	;; [unrolled: 1-line block ×5, first 2 shown]
	v_mul_u32_u24_e32 v45, 51, v45
	v_add_u32_sdwa v45, v45, v46 dst_sel:DWORD dst_unused:UNUSED_PAD src0_sel:DWORD src1_sel:BYTE_0
	v_add_lshl_u32 v108, v40, v45, 3
	s_waitcnt vmcnt(0) lgkmcnt(0)
	s_barrier
	v_cmp_gt_u16_e32 vcc, 51, v103
	s_movk_i32 s8, 0xa1
	s_movk_i32 s10, 0x1000
	v_lshl_add_u32 v106, v103, 3, v235
	v_lshl_add_u32 v115, v103, 3, v235
	v_mul_f32_e32 v55, v25, v9
	v_mul_f32_e32 v61, v29, v11
	;; [unrolled: 1-line block ×4, first 2 shown]
	v_fma_f32 v55, v24, v8, -v55
	v_fma_f32 v28, v28, v10, -v61
	v_fmac_f32_e32 v56, v25, v8
	v_fmac_f32_e32 v62, v29, v10
	v_mul_f32_e32 v65, v26, v5
	v_mul_f32_e32 v63, v27, v5
	v_fmac_f32_e32 v65, v27, v4
	v_mul_f32_e32 v24, v37, v13
	v_add_f32_e32 v27, v55, v28
	v_mul_f32_e32 v66, v31, v7
	v_fma_f32 v61, v26, v4, -v63
	v_fma_f32 v69, v36, v12, -v24
	v_mul_f32_e32 v24, v39, v17
	v_add_f32_e32 v26, v20, v55
	v_fma_f32 v20, -0.5, v27, v20
	v_add_f32_e32 v27, v56, v62
	v_mul_f32_e32 v67, v30, v7
	v_fma_f32 v63, v30, v6, -v66
	v_sub_f32_e32 v29, v56, v62
	v_add_f32_e32 v30, v21, v56
	v_fma_f32 v78, v38, v16, -v24
	v_add_f32_e32 v24, v26, v28
	v_mov_b32_e32 v26, v20
	v_fma_f32 v21, -0.5, v27, v21
	v_mul_f32_e32 v25, v42, v15
	v_fmac_f32_e32 v20, 0xbf5db3d7, v29
	v_fmac_f32_e32 v26, 0x3f5db3d7, v29
	v_sub_f32_e32 v28, v55, v28
	v_mov_b32_e32 v27, v21
	v_add_f32_e32 v29, v61, v63
	v_fmac_f32_e32 v67, v31, v6
	v_mul_f32_e32 v68, v41, v15
	v_fma_f32 v41, v41, v14, -v25
	v_mul_f32_e32 v25, v44, v19
	v_fmac_f32_e32 v27, 0xbf5db3d7, v28
	v_fmac_f32_e32 v21, 0x3f5db3d7, v28
	v_add_f32_e32 v28, v22, v61
	v_fma_f32 v22, -0.5, v29, v22
	v_fma_f32 v79, v43, v18, -v25
	v_add_f32_e32 v25, v30, v62
	v_sub_f32_e32 v29, v65, v67
	v_mov_b32_e32 v30, v22
	v_add_f32_e32 v31, v65, v67
	v_mul_f32_e32 v66, v36, v13
	v_fmac_f32_e32 v30, 0x3f5db3d7, v29
	v_fmac_f32_e32 v22, 0xbf5db3d7, v29
	v_add_f32_e32 v29, v23, v65
	v_fmac_f32_e32 v23, -0.5, v31
	v_fmac_f32_e32 v66, v37, v12
	v_sub_f32_e32 v36, v61, v63
	v_mov_b32_e32 v31, v23
	v_add_f32_e32 v37, v69, v41
	v_fmac_f32_e32 v68, v42, v14
	v_mul_f32_e32 v72, v38, v17
	v_fmac_f32_e32 v31, 0xbf5db3d7, v36
	v_fmac_f32_e32 v23, 0x3f5db3d7, v36
	v_add_f32_e32 v36, v32, v69
	v_fma_f32 v32, -0.5, v37, v32
	ds_write2_b64 v108, v[24:25], v[26:27] offset1:17
	ds_write_b64 v108, v[20:21] offset:272
	v_mul_u32_u24_e32 v20, 51, v48
	v_fmac_f32_e32 v72, v39, v16
	v_sub_f32_e32 v37, v66, v68
	v_mov_b32_e32 v38, v32
	v_add_f32_e32 v39, v66, v68
	v_add_u32_sdwa v20, v20, v49 dst_sel:DWORD dst_unused:UNUSED_PAD src0_sel:DWORD src1_sel:BYTE_0
	v_fmac_f32_e32 v38, 0x3f5db3d7, v37
	v_fmac_f32_e32 v32, 0xbf5db3d7, v37
	v_add_f32_e32 v37, v33, v66
	v_fma_f32 v33, -0.5, v39, v33
	v_add_lshl_u32 v109, v40, v20, 3
	v_mad_legacy_u16 v20, v51, 51, v52
	v_mul_f32_e32 v77, v43, v19
	v_add_f32_e32 v36, v36, v41
	v_sub_f32_e32 v41, v69, v41
	v_mov_b32_e32 v39, v33
	v_add_f32_e32 v42, v78, v79
	v_add_lshl_u32 v110, v40, v20, 3
	v_mad_legacy_u16 v20, v53, 51, v54
	v_fmac_f32_e32 v77, v44, v18
	v_fmac_f32_e32 v39, 0xbf5db3d7, v41
	;; [unrolled: 1-line block ×3, first 2 shown]
	v_add_f32_e32 v41, v34, v78
	v_fma_f32 v34, -0.5, v42, v34
	v_add_lshl_u32 v111, v40, v20, 3
	v_subrev_u32_e32 v20, 51, v103
	v_sub_f32_e32 v42, v72, v77
	v_mov_b32_e32 v43, v34
	v_add_f32_e32 v44, v72, v77
	v_cndmask_b32_e32 v61, v20, v103, vcc
	v_add_f32_e32 v28, v28, v63
	v_add_f32_e32 v29, v29, v67
	v_fmac_f32_e32 v43, 0x3f5db3d7, v42
	v_fmac_f32_e32 v34, 0xbf5db3d7, v42
	v_add_f32_e32 v42, v35, v72
	v_fmac_f32_e32 v35, -0.5, v44
	v_mul_i32_i24_e32 v21, 24, v61
	v_sub_f32_e32 v55, v78, v79
	v_mov_b32_e32 v44, v35
	ds_write2_b64 v109, v[28:29], v[30:31] offset1:17
	ds_write_b64 v109, v[22:23] offset:272
	v_mul_hi_i32_i24_e32 v20, 24, v61
	v_mov_b32_e32 v30, s3
	v_add_co_u32_e32 v24, vcc, s2, v21
	v_add_f32_e32 v37, v37, v68
	v_add_f32_e32 v41, v41, v79
	;; [unrolled: 1-line block ×3, first 2 shown]
	v_fmac_f32_e32 v44, 0xbf5db3d7, v55
	v_addc_co_u32_e32 v25, vcc, v30, v20, vcc
	v_fmac_f32_e32 v35, 0x3f5db3d7, v55
	ds_write2_b64 v110, v[36:37], v[38:39] offset1:17
	ds_write_b64 v110, v[32:33] offset:272
	ds_write2_b64 v111, v[41:42], v[43:44] offset1:17
	ds_write_b64 v111, v[34:35] offset:272
	s_waitcnt lgkmcnt(0)
	s_barrier
	global_load_dwordx2 v[77:78], v[24:25], off offset:288
	global_load_dwordx4 v[20:23], v[24:25], off offset:272
	v_mul_lo_u16_sdwa v24, v47, s8 dst_sel:DWORD dst_unused:UNUSED_PAD src0_sel:BYTE_0 src1_sel:DWORD
	v_lshrrev_b16_e32 v62, 13, v24
	v_mul_lo_u16_e32 v24, 51, v62
	v_sub_u16_e32 v24, v47, v24
	v_and_b32_e32 v63, 0xff, v24
	v_mad_u64_u32 v[28:29], s[8:9], v63, 24, s[2:3]
	s_mov_b32 s8, 0xa0a1
	global_load_dwordx4 v[24:27], v[28:29], off offset:272
	global_load_dwordx2 v[79:80], v[28:29], off offset:288
	v_mul_u32_u24_sdwa v28, v50, s8 dst_sel:DWORD dst_unused:UNUSED_PAD src0_sel:WORD_0 src1_sel:DWORD
	v_lshrrev_b32_e32 v65, 21, v28
	v_mul_lo_u16_e32 v28, 51, v65
	v_sub_u16_e32 v66, v50, v28
	v_mul_lo_u16_e32 v28, 24, v66
	v_add_co_u32_e32 v32, vcc, s2, v28
	v_addc_co_u32_e32 v33, vcc, 0, v30, vcc
	global_load_dwordx4 v[28:31], v[32:33], off offset:272
	global_load_dwordx2 v[81:82], v[32:33], off offset:288
	ds_read2_b64 v[32:35], v107 offset1:102
	ds_read2_b64 v[36:39], v58 offset0:76 offset1:178
	ds_read2_b64 v[41:44], v59 offset0:100 offset1:202
	;; [unrolled: 1-line block ×5, first 2 shown]
	v_cmp_lt_u16_e32 vcc, 50, v103
	s_waitcnt vmcnt(0) lgkmcnt(0)
	s_barrier
	s_movk_i32 s8, 0xcc
	v_mul_f32_e32 v67, v39, v21
	v_fma_f32 v67, v38, v20, -v67
	v_mul_f32_e32 v38, v38, v21
	v_fmac_f32_e32 v38, v39, v20
	v_mul_f32_e32 v39, v42, v23
	v_fma_f32 v39, v41, v22, -v39
	v_mul_f32_e32 v41, v41, v23
	v_fmac_f32_e32 v41, v42, v22
	;; [unrolled: 4-line block ×4, first 2 shown]
	v_mul_f32_e32 v50, v44, v27
	v_fma_f32 v50, v43, v26, -v50
	v_mul_f32_e32 v68, v43, v27
	v_mul_f32_e32 v43, v54, v80
	v_fma_f32 v69, v53, v79, -v43
	v_mul_f32_e32 v53, v53, v80
	v_mul_f32_e32 v43, v52, v29
	v_fmac_f32_e32 v53, v54, v79
	v_fma_f32 v54, v51, v28, -v43
	v_mul_f32_e32 v51, v51, v29
	v_mul_f32_e32 v43, v46, v31
	v_fmac_f32_e32 v51, v52, v28
	v_fma_f32 v52, v45, v30, -v43
	v_mul_f32_e32 v43, v56, v82
	v_fmac_f32_e32 v68, v44, v26
	v_mul_f32_e32 v72, v45, v31
	v_fma_f32 v83, v55, v81, -v43
	v_sub_f32_e32 v43, v32, v39
	v_sub_f32_e32 v44, v33, v41
	;; [unrolled: 1-line block ×4, first 2 shown]
	v_mul_f32_e32 v55, v55, v82
	v_fma_f32 v39, v32, 2.0, -v43
	v_fma_f32 v41, v33, 2.0, -v44
	;; [unrolled: 1-line block ×4, first 2 shown]
	v_fmac_f32_e32 v55, v56, v81
	v_sub_f32_e32 v32, v39, v32
	v_sub_f32_e32 v33, v41, v33
	v_sub_f32_e32 v50, v34, v50
	v_sub_f32_e32 v56, v35, v68
	v_sub_f32_e32 v67, v48, v69
	v_sub_f32_e32 v47, v49, v53
	v_fmac_f32_e32 v72, v46, v30
	v_fma_f32 v38, v39, 2.0, -v32
	v_fma_f32 v39, v41, 2.0, -v33
	v_sub_f32_e32 v41, v43, v45
	v_fma_f32 v45, v34, 2.0, -v50
	v_fma_f32 v46, v35, 2.0, -v56
	;; [unrolled: 1-line block ×4, first 2 shown]
	v_sub_f32_e32 v47, v50, v47
	v_add_f32_e32 v48, v56, v67
	v_fma_f32 v49, v50, 2.0, -v47
	v_fma_f32 v50, v56, 2.0, -v48
	v_sub_f32_e32 v56, v36, v52
	v_sub_f32_e32 v67, v37, v72
	;; [unrolled: 1-line block ×4, first 2 shown]
	v_fma_f32 v52, v36, 2.0, -v56
	v_fma_f32 v53, v37, 2.0, -v67
	;; [unrolled: 1-line block ×4, first 2 shown]
	v_sub_f32_e32 v36, v52, v36
	v_sub_f32_e32 v37, v53, v37
	v_fma_f32 v51, v52, 2.0, -v36
	v_fma_f32 v52, v53, 2.0, -v37
	v_sub_f32_e32 v53, v56, v55
	v_add_f32_e32 v54, v67, v68
	v_fma_f32 v55, v56, 2.0, -v53
	v_fma_f32 v56, v67, 2.0, -v54
	v_mov_b32_e32 v67, 0xcc
	v_cndmask_b32_e32 v67, 0, v67, vcc
	v_add_f32_e32 v42, v44, v42
	v_add_u32_e32 v61, v61, v67
	v_fma_f32 v43, v43, 2.0, -v41
	v_fma_f32 v44, v44, 2.0, -v42
	v_add_lshl_u32 v112, v40, v61, 3
	ds_write2_b64 v112, v[38:39], v[43:44] offset1:51
	ds_write2_b64 v112, v[32:33], v[41:42] offset0:102 offset1:153
	v_mul_u32_u24_e32 v32, 0xcc, v62
	v_add_u32_e32 v32, v32, v63
	v_add_lshl_u32 v113, v40, v32, 3
	v_mad_legacy_u16 v32, v65, s8, v66
	v_add_lshl_u32 v114, v40, v32, 3
	v_mad_u64_u32 v[40:41], s[2:3], v103, 40, s[2:3]
	v_sub_f32_e32 v34, v45, v34
	v_sub_f32_e32 v35, v46, v35
	v_add_co_u32_e32 v42, vcc, s10, v40
	v_fma_f32 v45, v45, 2.0, -v34
	v_fma_f32 v46, v46, 2.0, -v35
	v_addc_co_u32_e32 v43, vcc, 0, v41, vcc
	ds_write2_b64 v113, v[45:46], v[49:50] offset1:51
	ds_write2_b64 v113, v[34:35], v[47:48] offset0:102 offset1:153
	ds_write2_b64 v114, v[51:52], v[55:56] offset1:51
	ds_write2_b64 v114, v[36:37], v[53:54] offset0:102 offset1:153
	s_waitcnt lgkmcnt(0)
	s_barrier
	global_load_dwordx4 v[36:39], v[40:41], off offset:1496
	global_load_dwordx4 v[32:35], v[40:41], off offset:1512
	global_load_dwordx2 v[83:84], v[40:41], off offset:1528
	global_load_dwordx4 v[44:47], v[42:43], off offset:1480
	s_movk_i32 s2, 0x15c8
	v_add_co_u32_e32 v48, vcc, s2, v40
	v_addc_co_u32_e32 v49, vcc, 0, v41, vcc
	global_load_dwordx4 v[40:43], v[48:49], off offset:16
	global_load_dwordx2 v[85:86], v[48:49], off offset:32
	ds_read2_b64 v[66:69], v107 offset1:102
	ds_read2_b64 v[48:51], v58 offset0:76 offset1:178
	ds_read2_b64 v[52:55], v57 offset0:152 offset1:254
	;; [unrolled: 1-line block ×5, first 2 shown]
	s_waitcnt vmcnt(5) lgkmcnt(4)
	v_mul_f32_e32 v64, v49, v37
	v_fma_f32 v64, v48, v36, -v64
	v_mul_f32_e32 v65, v48, v37
	s_waitcnt vmcnt(2)
	v_mul_f32_e32 v72, v51, v45
	v_fma_f32 v72, v50, v44, -v72
	v_mul_f32_e32 v91, v50, v45
	s_waitcnt lgkmcnt(3)
	v_mul_f32_e32 v50, v55, v47
	v_mul_f32_e32 v48, v53, v39
	v_fma_f32 v92, v54, v46, -v50
	s_waitcnt vmcnt(1) lgkmcnt(2)
	v_mul_f32_e32 v50, v59, v41
	v_fmac_f32_e32 v65, v49, v36
	v_fma_f32 v48, v52, v38, -v48
	v_mul_f32_e32 v49, v52, v39
	v_mul_f32_e32 v52, v57, v33
	v_fma_f32 v94, v58, v40, -v50
	v_mul_f32_e32 v58, v58, v41
	s_waitcnt lgkmcnt(1)
	v_mul_f32_e32 v50, v63, v43
	v_fmac_f32_e32 v49, v53, v38
	v_fma_f32 v52, v56, v32, -v52
	v_mul_f32_e32 v53, v56, v33
	v_mul_f32_e32 v56, v61, v35
	v_fmac_f32_e32 v58, v59, v40
	v_fma_f32 v59, v62, v42, -v50
	v_mul_f32_e32 v62, v62, v43
	s_waitcnt vmcnt(0) lgkmcnt(0)
	v_mul_f32_e32 v50, v90, v86
	v_fma_f32 v56, v60, v34, -v56
	v_fmac_f32_e32 v62, v63, v42
	v_fma_f32 v63, v89, v85, -v50
	v_add_f32_e32 v50, v66, v48
	v_fmac_f32_e32 v53, v57, v32
	v_mul_f32_e32 v57, v60, v35
	v_mul_f32_e32 v93, v54, v47
	v_add_f32_e32 v54, v50, v56
	v_add_f32_e32 v50, v48, v56
	v_fmac_f32_e32 v57, v61, v34
	v_fmac_f32_e32 v93, v55, v46
	v_fma_f32 v55, -0.5, v50, v66
	v_sub_f32_e32 v50, v49, v57
	v_mov_b32_e32 v66, v55
	v_mul_f32_e32 v89, v89, v86
	v_fmac_f32_e32 v66, 0x3f5db3d7, v50
	v_fmac_f32_e32 v55, 0xbf5db3d7, v50
	v_add_f32_e32 v50, v67, v49
	v_add_f32_e32 v49, v49, v57
	v_fmac_f32_e32 v89, v90, v85
	v_add_f32_e32 v90, v50, v57
	v_fma_f32 v57, -0.5, v49, v67
	v_mul_f32_e32 v60, v88, v84
	v_sub_f32_e32 v48, v48, v56
	v_mov_b32_e32 v67, v57
	v_fma_f32 v60, v87, v83, -v60
	v_fmac_f32_e32 v67, 0xbf5db3d7, v48
	v_fmac_f32_e32 v57, 0x3f5db3d7, v48
	v_add_f32_e32 v48, v64, v52
	v_mul_f32_e32 v61, v87, v84
	v_add_f32_e32 v56, v48, v60
	v_add_f32_e32 v48, v52, v60
	v_fmac_f32_e32 v61, v88, v83
	v_fmac_f32_e32 v64, -0.5, v48
	v_sub_f32_e32 v48, v53, v61
	v_mov_b32_e32 v49, v64
	v_fmac_f32_e32 v49, 0x3f5db3d7, v48
	v_fmac_f32_e32 v64, 0xbf5db3d7, v48
	v_add_f32_e32 v48, v65, v53
	v_add_f32_e32 v95, v48, v61
	;; [unrolled: 1-line block ×3, first 2 shown]
	v_fmac_f32_e32 v65, -0.5, v48
	v_sub_f32_e32 v48, v52, v60
	v_fmac_f32_e32 v91, v51, v44
	v_mov_b32_e32 v51, v65
	v_fmac_f32_e32 v65, 0x3f5db3d7, v48
	v_mul_f32_e32 v60, -0.5, v64
	v_fmac_f32_e32 v60, 0x3f5db3d7, v65
	v_fmac_f32_e32 v51, 0xbf5db3d7, v48
	v_add_f32_e32 v87, v54, v56
	v_add_f32_e32 v50, v55, v60
	v_mul_f32_e32 v65, -0.5, v65
	v_sub_f32_e32 v52, v54, v56
	v_sub_f32_e32 v56, v55, v60
	v_add_f32_e32 v60, v68, v92
	v_mul_f32_e32 v53, 0x3f5db3d7, v51
	v_mul_f32_e32 v61, 0xbf5db3d7, v49
	v_fmac_f32_e32 v65, 0xbf5db3d7, v64
	v_add_f32_e32 v64, v60, v59
	v_add_f32_e32 v60, v92, v59
	v_fmac_f32_e32 v53, 0.5, v49
	v_fmac_f32_e32 v61, 0.5, v51
	v_add_f32_e32 v51, v57, v65
	v_sub_f32_e32 v57, v57, v65
	v_fma_f32 v65, -0.5, v60, v68
	v_add_f32_e32 v48, v66, v53
	v_sub_f32_e32 v54, v66, v53
	v_sub_f32_e32 v60, v93, v62
	v_mov_b32_e32 v66, v65
	v_fmac_f32_e32 v66, 0x3f5db3d7, v60
	v_fmac_f32_e32 v65, 0xbf5db3d7, v60
	v_add_f32_e32 v60, v69, v93
	v_add_f32_e32 v49, v67, v61
	v_sub_f32_e32 v55, v67, v61
	v_add_f32_e32 v67, v60, v62
	v_add_f32_e32 v60, v93, v62
	v_fmac_f32_e32 v69, -0.5, v60
	v_add_f32_e32 v88, v90, v95
	v_sub_f32_e32 v53, v90, v95
	v_sub_f32_e32 v59, v92, v59
	v_mov_b32_e32 v90, v69
	v_fmac_f32_e32 v90, 0xbf5db3d7, v59
	v_fmac_f32_e32 v69, 0x3f5db3d7, v59
	v_add_f32_e32 v59, v72, v94
	v_add_f32_e32 v68, v59, v63
	;; [unrolled: 1-line block ×3, first 2 shown]
	v_fmac_f32_e32 v72, -0.5, v59
	v_sub_f32_e32 v59, v58, v89
	v_mov_b32_e32 v61, v72
	v_fmac_f32_e32 v61, 0x3f5db3d7, v59
	v_fmac_f32_e32 v72, 0xbf5db3d7, v59
	v_add_f32_e32 v59, v91, v58
	v_add_f32_e32 v58, v58, v89
	v_fmac_f32_e32 v91, -0.5, v58
	v_sub_f32_e32 v58, v94, v63
	v_mov_b32_e32 v63, v91
	v_fmac_f32_e32 v63, 0xbf5db3d7, v58
	v_fmac_f32_e32 v91, 0x3f5db3d7, v58
	v_mul_f32_e32 v93, -0.5, v72
	v_add_f32_e32 v92, v59, v89
	v_mul_f32_e32 v89, 0x3f5db3d7, v63
	v_fmac_f32_e32 v93, 0x3f5db3d7, v91
	v_mul_f32_e32 v94, 0xbf5db3d7, v61
	v_mul_f32_e32 v91, -0.5, v91
	v_fmac_f32_e32 v89, 0.5, v61
	v_fmac_f32_e32 v94, 0.5, v63
	v_fmac_f32_e32 v91, 0xbf5db3d7, v72
	v_add_f32_e32 v58, v64, v68
	v_add_f32_e32 v60, v66, v89
	v_add_f32_e32 v62, v65, v93
	v_add_f32_e32 v59, v67, v92
	v_add_f32_e32 v61, v90, v94
	v_add_f32_e32 v63, v69, v91
	v_sub_f32_e32 v64, v64, v68
	v_sub_f32_e32 v66, v66, v89
	;; [unrolled: 1-line block ×6, first 2 shown]
	v_add_u32_e32 v90, 0x800, v106
	v_add_u32_e32 v91, 0xc00, v106
	;; [unrolled: 1-line block ×4, first 2 shown]
	ds_write_b64 v115, v[87:88]
	ds_write2_b64 v106, v[58:59], v[48:49] offset0:102 offset1:204
	ds_write2_b64 v90, v[60:61], v[50:51] offset0:50 offset1:152
	;; [unrolled: 1-line block ×5, first 2 shown]
	ds_write_b64 v106, v[68:69] offset:8976
	s_waitcnt lgkmcnt(0)
	s_barrier
	s_and_saveexec_b64 s[2:3], s[0:1]
	s_cbranch_execz .LBB0_9
; %bb.8:
	s_add_u32 s8, s12, 0x2640
	s_addc_u32 s9, s13, 0
	global_load_dwordx2 v[92:93], v104, s[8:9]
	v_mov_b32_e32 v72, s9
	v_add_co_u32_e32 v98, vcc, s8, v104
	global_load_dwordx2 v[100:101], v104, s[8:9] offset:576
	global_load_dwordx2 v[132:133], v104, s[8:9] offset:1152
	;; [unrolled: 1-line block ×7, first 2 shown]
	v_addc_co_u32_e32 v72, vcc, 0, v72, vcc
	v_add_co_u32_e32 v94, vcc, s10, v98
	v_addc_co_u32_e32 v95, vcc, 0, v72, vcc
	global_load_dwordx2 v[144:145], v[94:95], off offset:512
	global_load_dwordx2 v[146:147], v[94:95], off offset:1088
	;; [unrolled: 1-line block ×6, first 2 shown]
	s_movk_i32 s10, 0x2000
	global_load_dwordx2 v[156:157], v[94:95], off offset:3968
	v_add_co_u32_e32 v94, vcc, s10, v98
	v_addc_co_u32_e32 v95, vcc, 0, v72, vcc
	global_load_dwordx2 v[158:159], v[94:95], off offset:448
	v_or_b32_e32 v72, 0x2400, v104
	global_load_dwordx2 v[160:161], v72, s[8:9]
	ds_read_b64 v[96:97], v115
	v_add_u32_e32 v105, 0x400, v106
	v_add_u32_e32 v164, 0x1000, v106
	s_waitcnt vmcnt(16) lgkmcnt(0)
	v_mul_f32_e32 v72, v97, v93
	v_mul_f32_e32 v94, v96, v93
	v_fma_f32 v93, v96, v92, -v72
	v_fmac_f32_e32 v94, v97, v92
	ds_write_b64 v115, v[93:94]
	ds_read2_b64 v[92:95], v106 offset0:72 offset1:144
	ds_read2_b64 v[96:99], v105 offset0:88 offset1:160
	;; [unrolled: 1-line block ×6, first 2 shown]
	s_waitcnt vmcnt(15) lgkmcnt(5)
	v_mul_f32_e32 v72, v93, v101
	v_mul_f32_e32 v102, v92, v101
	s_waitcnt vmcnt(14)
	v_mul_f32_e32 v162, v95, v133
	v_mul_f32_e32 v163, v94, v133
	s_waitcnt vmcnt(13) lgkmcnt(4)
	v_mul_f32_e32 v165, v97, v135
	v_mul_f32_e32 v133, v96, v135
	s_waitcnt vmcnt(12)
	v_mul_f32_e32 v166, v99, v137
	v_mul_f32_e32 v135, v98, v137
	;; [unrolled: 6-line block ×5, first 2 shown]
	v_fma_f32 v101, v92, v100, -v72
	v_fmac_f32_e32 v102, v93, v100
	v_fma_f32 v162, v94, v132, -v162
	v_fmac_f32_e32 v163, v95, v132
	;; [unrolled: 2-line block ×10, first 2 shown]
	ds_write2_b64 v106, v[101:102], v[162:163] offset0:72 offset1:144
	ds_write2_b64 v105, v[132:133], v[134:135] offset0:88 offset1:160
	;; [unrolled: 1-line block ×5, first 2 shown]
	s_waitcnt vmcnt(5) lgkmcnt(5)
	v_mul_f32_e32 v72, v129, v151
	v_fma_f32 v94, v128, v150, -v72
	v_mul_f32_e32 v95, v128, v151
	s_waitcnt vmcnt(4)
	v_mul_f32_e32 v72, v131, v153
	ds_read2_b64 v[90:93], v89 offset0:168 offset1:240
	v_mul_f32_e32 v97, v130, v153
	v_fmac_f32_e32 v95, v129, v150
	v_fma_f32 v96, v130, v152, -v72
	v_fmac_f32_e32 v97, v131, v152
	v_add_u32_e32 v100, 0x2000, v106
	ds_write2_b64 v89, v[94:95], v[96:97] offset0:24 offset1:96
	ds_read2_b64 v[94:97], v100 offset0:56 offset1:128
	s_waitcnt vmcnt(3) lgkmcnt(2)
	v_mul_f32_e32 v72, v91, v155
	v_mul_f32_e32 v99, v90, v155
	v_fma_f32 v98, v90, v154, -v72
	v_fmac_f32_e32 v99, v91, v154
	s_waitcnt vmcnt(2)
	v_mul_f32_e32 v72, v93, v157
	v_mul_f32_e32 v91, v92, v157
	v_fma_f32 v90, v92, v156, -v72
	v_fmac_f32_e32 v91, v93, v156
	s_waitcnt vmcnt(1) lgkmcnt(0)
	v_mul_f32_e32 v72, v95, v159
	ds_write2_b64 v89, v[98:99], v[90:91] offset0:168 offset1:240
	v_fma_f32 v89, v94, v158, -v72
	v_mul_f32_e32 v90, v94, v159
	s_waitcnt vmcnt(0)
	v_mul_f32_e32 v72, v97, v161
	v_mul_f32_e32 v92, v96, v161
	v_fmac_f32_e32 v90, v95, v158
	v_fma_f32 v91, v96, v160, -v72
	v_fmac_f32_e32 v92, v97, v160
	ds_write2_b64 v100, v[89:90], v[91:92] offset0:56 offset1:128
.LBB0_9:
	s_or_b64 exec, exec, s[2:3]
	s_waitcnt lgkmcnt(0)
	s_barrier
	s_and_saveexec_b64 s[2:3], s[0:1]
	s_cbranch_execz .LBB0_11
; %bb.10:
	v_add_u32_e32 v0, 0x400, v115
	ds_read_b64 v[87:88], v115
	ds_read2_b64 v[48:51], v115 offset0:72 offset1:144
	ds_read2_b64 v[52:55], v0 offset0:88 offset1:160
	v_add_u32_e32 v0, 0x800, v115
	ds_read2_b64 v[56:59], v0 offset0:104 offset1:176
	v_add_u32_e32 v0, 0xc00, v115
	;; [unrolled: 2-line block ×3, first 2 shown]
	v_add_u32_e32 v1, 0x1800, v115
	ds_read2_b64 v[68:71], v1 offset0:24 offset1:96
	ds_read2_b64 v[64:67], v0 offset0:136 offset1:208
	;; [unrolled: 1-line block ×3, first 2 shown]
	v_add_u32_e32 v0, 0x2000, v115
	ds_read2_b64 v[0:3], v0 offset0:56 offset1:128
	s_waitcnt lgkmcnt(3)
	v_mov_b32_e32 v75, v70
	v_mov_b32_e32 v76, v71
	s_waitcnt lgkmcnt(1)
	v_mov_b32_e32 v73, v89
	v_mov_b32_e32 v74, v90
	;; [unrolled: 1-line block ×4, first 2 shown]
.LBB0_11:
	s_or_b64 exec, exec, s[2:3]
	v_add_u32_e32 v116, 0x330, v106
	s_waitcnt lgkmcnt(0)
	s_barrier
	s_and_saveexec_b64 s[2:3], s[0:1]
	s_cbranch_execz .LBB0_13
; %bb.12:
	v_sub_f32_e32 v117, v48, v2
	v_mul_f32_e32 v72, 0xbf06c442, v117
	v_sub_f32_e32 v118, v50, v0
	v_add_f32_e32 v133, v3, v49
	v_mov_b32_e32 v89, v72
	v_mul_f32_e32 v95, 0x3f65296c, v118
	v_fmac_f32_e32 v89, 0xbf59a7d5, v133
	v_add_f32_e32 v134, v1, v51
	v_mov_b32_e32 v90, v95
	v_sub_f32_e32 v119, v52, v70
	v_add_f32_e32 v89, v88, v89
	v_fmac_f32_e32 v90, 0x3ee437d1, v134
	v_mul_f32_e32 v96, 0xbf7ee86f, v119
	v_add_f32_e32 v89, v90, v89
	v_add_f32_e32 v135, v71, v53
	v_mov_b32_e32 v90, v96
	v_sub_f32_e32 v120, v54, v73
	v_fmac_f32_e32 v90, 0x3dbcf732, v135
	v_mul_f32_e32 v97, 0x3f4c4adb, v120
	v_add_f32_e32 v89, v90, v89
	v_add_f32_e32 v136, v74, v55
	v_mov_b32_e32 v90, v97
	v_sub_f32_e32 v121, v56, v75
	v_fmac_f32_e32 v90, 0xbf1a4643, v136
	v_mul_f32_e32 v98, 0xbeb8f4ab, v121
	s_mov_b32 s8, 0xbf59a7d5
	v_add_f32_e32 v89, v90, v89
	v_add_f32_e32 v137, v76, v57
	v_mov_b32_e32 v90, v98
	v_sub_f32_e32 v122, v58, v68
	s_mov_b32 s9, 0x3ee437d1
	v_fmac_f32_e32 v90, 0x3f6eb680, v137
	v_mul_f32_e32 v99, 0xbe3c28d5, v122
	v_fma_f32 v72, v133, s8, -v72
	s_mov_b32 s10, 0x3dbcf732
	v_add_f32_e32 v89, v90, v89
	v_add_f32_e32 v138, v69, v59
	v_mov_b32_e32 v90, v99
	v_sub_f32_e32 v123, v60, v66
	v_add_f32_e32 v72, v88, v72
	v_fma_f32 v95, v134, s9, -v95
	s_mov_b32 s11, 0xbf1a4643
	v_fmac_f32_e32 v90, 0xbf7ba420, v138
	v_mul_f32_e32 v100, 0x3f2c7751, v123
	v_add_f32_e32 v72, v95, v72
	v_fma_f32 v95, v135, s10, -v96
	s_mov_b32 s17, 0x3f6eb680
	v_add_f32_e32 v89, v90, v89
	v_add_f32_e32 v139, v67, v61
	v_mov_b32_e32 v90, v100
	v_sub_f32_e32 v124, v62, v64
	v_add_f32_e32 v72, v95, v72
	v_fma_f32 v95, v136, s11, -v97
	s_mov_b32 s16, 0xbf7ba420
	v_fmac_f32_e32 v90, 0x3f3d2fb0, v139
	v_mul_f32_e32 v101, 0xbf763a35, v124
	v_add_f32_e32 v72, v95, v72
	v_fma_f32 v95, v137, s17, -v98
	s_mov_b32 s18, 0x3f3d2fb0
	v_add_f32_e32 v89, v90, v89
	v_add_f32_e32 v140, v65, v63
	v_mov_b32_e32 v90, v101
	v_sub_f32_e32 v141, v49, v3
	v_add_f32_e32 v72, v95, v72
	v_fma_f32 v95, v138, s16, -v99
	s_mov_b32 s19, 0xbe8c1d8e
	v_fmac_f32_e32 v90, 0xbe8c1d8e, v140
	v_add_f32_e32 v125, v2, v48
	v_mul_f32_e32 v102, 0xbf06c442, v141
	v_sub_f32_e32 v142, v51, v1
	v_add_f32_e32 v72, v95, v72
	v_fma_f32 v95, v139, s18, -v100
	v_add_f32_e32 v90, v90, v89
	v_fma_f32 v89, v125, s8, -v102
	v_add_f32_e32 v126, v0, v50
	v_mul_f32_e32 v105, 0x3f65296c, v142
	v_sub_f32_e32 v143, v53, v71
	v_add_f32_e32 v72, v95, v72
	v_fma_f32 v95, v140, s19, -v101
	v_fmac_f32_e32 v102, 0xbf59a7d5, v125
	v_add_f32_e32 v89, v87, v89
	v_fma_f32 v91, v126, s9, -v105
	v_add_f32_e32 v127, v70, v52
	v_mul_f32_e32 v149, 0xbf7ee86f, v143
	v_sub_f32_e32 v144, v55, v74
	v_add_f32_e32 v96, v95, v72
	v_add_f32_e32 v72, v87, v102
	v_fmac_f32_e32 v105, 0x3ee437d1, v126
	v_add_f32_e32 v89, v91, v89
	v_fma_f32 v91, v127, s10, -v149
	v_add_f32_e32 v128, v73, v54
	v_mul_f32_e32 v150, 0x3f4c4adb, v144
	v_sub_f32_e32 v145, v57, v76
	v_add_f32_e32 v72, v105, v72
	v_fmac_f32_e32 v149, 0x3dbcf732, v127
	v_add_f32_e32 v89, v91, v89
	v_fma_f32 v91, v128, s11, -v150
	v_add_f32_e32 v129, v75, v56
	v_mul_f32_e32 v151, 0xbeb8f4ab, v145
	v_sub_f32_e32 v146, v59, v69
	;; [unrolled: 7-line block ×4, first 2 shown]
	v_add_f32_e32 v72, v151, v72
	v_fmac_f32_e32 v152, 0xbf7ba420, v130
	v_add_f32_e32 v89, v91, v89
	v_fma_f32 v91, v131, s18, -v153
	v_add_f32_e32 v132, v64, v62
	v_mul_f32_e32 v154, 0xbf763a35, v148
	v_add_f32_e32 v72, v152, v72
	v_fmac_f32_e32 v153, 0x3f3d2fb0, v131
	v_add_f32_e32 v89, v91, v89
	v_fma_f32 v91, v132, s19, -v154
	v_add_f32_e32 v72, v153, v72
	v_fmac_f32_e32 v154, 0xbe8c1d8e, v132
	v_add_f32_e32 v95, v154, v72
	v_mul_f32_e32 v72, 0xbf1a4643, v133
	v_mul_f32_e32 v93, 0xbe3c28d5, v117
	v_mov_b32_e32 v97, v72
	v_mul_f32_e32 v105, 0xbe8c1d8e, v134
	v_add_f32_e32 v89, v91, v89
	v_mov_b32_e32 v91, v93
	v_mul_f32_e32 v94, 0x3eb8f4ab, v118
	v_fmac_f32_e32 v97, 0x3f4c4adb, v117
	v_mov_b32_e32 v98, v105
	v_fmac_f32_e32 v91, 0xbf7ba420, v133
	v_mov_b32_e32 v92, v94
	v_add_f32_e32 v97, v88, v97
	v_fmac_f32_e32 v98, 0xbf763a35, v118
	v_mul_f32_e32 v153, 0x3f6eb680, v135
	v_add_f32_e32 v91, v88, v91
	v_fmac_f32_e32 v92, 0x3f6eb680, v134
	v_mul_f32_e32 v155, 0xbf06c442, v119
	v_add_f32_e32 v97, v98, v97
	v_mov_b32_e32 v98, v153
	v_add_f32_e32 v91, v92, v91
	v_mov_b32_e32 v92, v155
	v_fma_f32 v93, v133, s16, -v93
	v_fmac_f32_e32 v98, 0x3eb8f4ab, v119
	v_mul_f32_e32 v154, 0xbf59a7d5, v136
	v_fmac_f32_e32 v92, 0xbf59a7d5, v135
	v_mul_f32_e32 v156, 0x3f2c7751, v120
	v_add_f32_e32 v93, v88, v93
	v_fma_f32 v94, v134, s17, -v94
	v_add_f32_e32 v97, v98, v97
	v_mov_b32_e32 v98, v154
	v_add_f32_e32 v91, v92, v91
	v_mov_b32_e32 v92, v156
	v_add_f32_e32 v93, v94, v93
	v_fma_f32 v94, v135, s8, -v155
	v_fmac_f32_e32 v98, 0x3f06c442, v120
	v_mul_f32_e32 v155, 0x3dbcf732, v137
	v_fmac_f32_e32 v92, 0x3f3d2fb0, v136
	v_mul_f32_e32 v157, 0xbf4c4adb, v121
	v_add_f32_e32 v97, v98, v97
	v_mov_b32_e32 v98, v155
	v_add_f32_e32 v91, v92, v91
	v_mov_b32_e32 v92, v157
	v_add_f32_e32 v93, v94, v93
	v_fma_f32 v94, v136, s18, -v156
	v_fmac_f32_e32 v98, 0xbf7ee86f, v121
	v_mul_f32_e32 v156, 0x3f3d2fb0, v138
	v_fmac_f32_e32 v92, 0xbf1a4643, v137
	v_mul_f32_e32 v158, 0x3f65296c, v122
	;; [unrolled: 10-line block ×5, first 2 shown]
	v_add_f32_e32 v93, v94, v93
	v_fma_f32 v94, v140, s10, -v160
	v_add_f32_e32 v98, v98, v97
	v_mov_b32_e32 v97, v159
	v_mul_f32_e32 v160, 0x3f763a35, v142
	v_add_f32_e32 v92, v92, v91
	v_fma_f32 v91, v125, s16, -v161
	v_mul_f32_e32 v162, 0x3eb8f4ab, v142
	v_fmac_f32_e32 v161, 0xbf7ba420, v125
	v_fmac_f32_e32 v97, 0xbf1a4643, v125
	v_mov_b32_e32 v99, v160
	v_add_f32_e32 v91, v87, v91
	v_fma_f32 v163, v126, s17, -v162
	v_add_f32_e32 v94, v94, v93
	v_add_f32_e32 v93, v87, v161
	;; [unrolled: 1-line block ×3, first 2 shown]
	v_fmac_f32_e32 v99, 0xbe8c1d8e, v126
	v_mul_f32_e32 v161, 0xbeb8f4ab, v143
	v_add_f32_e32 v91, v163, v91
	v_mul_f32_e32 v163, 0xbf06c442, v143
	v_fmac_f32_e32 v162, 0x3f6eb680, v126
	v_add_f32_e32 v97, v99, v97
	v_mov_b32_e32 v99, v161
	v_fma_f32 v164, v127, s8, -v163
	v_add_f32_e32 v93, v162, v93
	v_fmac_f32_e32 v99, 0x3f6eb680, v127
	v_mul_f32_e32 v162, 0xbf06c442, v144
	v_add_f32_e32 v91, v164, v91
	v_mul_f32_e32 v164, 0x3f2c7751, v144
	v_fmac_f32_e32 v163, 0xbf59a7d5, v127
	v_add_f32_e32 v97, v99, v97
	v_mov_b32_e32 v99, v162
	v_fma_f32 v165, v128, s18, -v164
	v_add_f32_e32 v93, v163, v93
	;; [unrolled: 9-line block ×6, first 2 shown]
	v_fmac_f32_e32 v168, 0x3dbcf732, v132
	v_fmac_f32_e32 v99, 0x3ee437d1, v132
	v_mul_f32_e32 v167, 0xbe8c1d8e, v133
	v_add_f32_e32 v93, v168, v93
	v_add_f32_e32 v97, v99, v97
	v_mov_b32_e32 v99, v167
	v_mul_f32_e32 v168, 0xbf59a7d5, v134
	v_fmac_f32_e32 v99, 0x3f763a35, v117
	v_mov_b32_e32 v100, v168
	v_add_f32_e32 v91, v169, v91
	v_add_f32_e32 v99, v88, v99
	v_fmac_f32_e32 v100, 0xbf06c442, v118
	v_mul_f32_e32 v169, 0x3f3d2fb0, v135
	v_add_f32_e32 v99, v100, v99
	v_mov_b32_e32 v100, v169
	v_fmac_f32_e32 v100, 0xbf2c7751, v119
	v_mul_f32_e32 v170, 0x3ee437d1, v136
	v_add_f32_e32 v99, v100, v99
	v_mov_b32_e32 v100, v170
	;; [unrolled: 4-line block ×7, first 2 shown]
	v_mul_f32_e32 v177, 0x3f06c442, v142
	v_fmac_f32_e32 v99, 0xbe8c1d8e, v125
	v_mov_b32_e32 v101, v177
	v_add_f32_e32 v99, v87, v99
	v_fmac_f32_e32 v101, 0xbf59a7d5, v126
	v_mul_f32_e32 v178, 0x3f2c7751, v143
	v_add_f32_e32 v99, v101, v99
	v_mov_b32_e32 v101, v178
	v_fmac_f32_e32 v101, 0x3f3d2fb0, v127
	v_mul_f32_e32 v179, 0xbf65296c, v144
	v_add_f32_e32 v99, v101, v99
	v_mov_b32_e32 v101, v179
	;; [unrolled: 4-line block ×7, first 2 shown]
	v_mul_f32_e32 v185, 0xbf7ba420, v134
	v_fmac_f32_e32 v101, 0x3f7ee86f, v117
	v_mov_b32_e32 v102, v185
	v_add_f32_e32 v101, v88, v101
	v_fmac_f32_e32 v102, 0x3e3c28d5, v118
	v_mul_f32_e32 v186, 0xbe8c1d8e, v135
	v_add_f32_e32 v101, v102, v101
	v_mov_b32_e32 v102, v186
	v_fmac_f32_e32 v102, 0xbf763a35, v119
	v_mul_f32_e32 v187, 0x3f6eb680, v136
	v_add_f32_e32 v101, v102, v101
	v_mov_b32_e32 v102, v187
	v_fmac_f32_e32 v102, 0xbeb8f4ab, v120
	v_mul_f32_e32 v188, 0x3ee437d1, v137
	v_add_f32_e32 v49, v49, v88
	v_add_f32_e32 v101, v102, v101
	v_mov_b32_e32 v102, v188
	v_add_f32_e32 v49, v51, v49
	v_fmac_f32_e32 v102, 0x3f65296c, v121
	v_mul_f32_e32 v189, 0xbf59a7d5, v138
	v_add_f32_e32 v49, v53, v49
	v_add_f32_e32 v101, v102, v101
	v_mov_b32_e32 v102, v189
	v_add_f32_e32 v49, v55, v49
	;; [unrolled: 6-line block ×4, first 2 shown]
	v_fmac_f32_e32 v102, 0xbf2c7751, v124
	v_mul_f32_e32 v192, 0xbf7ee86f, v141
	v_add_f32_e32 v49, v65, v49
	v_add_f32_e32 v102, v102, v101
	v_mov_b32_e32 v101, v192
	v_mul_f32_e32 v193, 0xbe3c28d5, v142
	v_add_f32_e32 v49, v67, v49
	v_fmac_f32_e32 v101, 0x3dbcf732, v125
	v_mov_b32_e32 v149, v193
	v_add_f32_e32 v49, v69, v49
	v_add_f32_e32 v101, v87, v101
	v_fmac_f32_e32 v149, 0xbf7ba420, v126
	v_mul_f32_e32 v194, 0x3f763a35, v143
	v_add_f32_e32 v49, v76, v49
	v_add_f32_e32 v101, v149, v101
	v_mov_b32_e32 v149, v194
	v_add_f32_e32 v49, v74, v49
	v_fmac_f32_e32 v149, 0xbe8c1d8e, v127
	v_mul_f32_e32 v195, 0x3eb8f4ab, v144
	v_add_f32_e32 v49, v71, v49
	v_add_f32_e32 v101, v149, v101
	v_mov_b32_e32 v149, v195
	v_add_f32_e32 v1, v1, v49
	v_fmac_f32_e32 v149, 0x3f6eb680, v128
	v_mul_f32_e32 v196, 0xbf65296c, v145
	v_add_f32_e32 v1, v3, v1
	v_add_f32_e32 v3, v48, v87
	;; [unrolled: 1-line block ×3, first 2 shown]
	v_mov_b32_e32 v149, v196
	v_add_f32_e32 v3, v50, v3
	v_fmac_f32_e32 v149, 0x3ee437d1, v129
	v_mul_f32_e32 v197, 0xbf06c442, v146
	v_add_f32_e32 v3, v52, v3
	v_add_f32_e32 v101, v149, v101
	v_mov_b32_e32 v149, v197
	v_add_f32_e32 v3, v54, v3
	v_fmac_f32_e32 v149, 0xbf59a7d5, v130
	v_mul_f32_e32 v198, 0x3f4c4adb, v147
	v_add_f32_e32 v3, v56, v3
	v_add_f32_e32 v101, v149, v101
	;; [unrolled: 6-line block ×4, first 2 shown]
	v_mov_b32_e32 v149, v200
	v_mul_f32_e32 v201, 0xbf1a4643, v134
	v_add_f32_e32 v3, v66, v3
	v_fmac_f32_e32 v149, 0x3f65296c, v117
	v_mov_b32_e32 v150, v201
	v_add_f32_e32 v3, v68, v3
	v_add_f32_e32 v149, v88, v149
	v_fmac_f32_e32 v150, 0x3f4c4adb, v118
	v_mul_f32_e32 v202, 0xbf7ba420, v135
	v_add_f32_e32 v3, v75, v3
	v_add_f32_e32 v149, v150, v149
	v_mov_b32_e32 v150, v202
	v_add_f32_e32 v3, v73, v3
	v_fmac_f32_e32 v150, 0xbe3c28d5, v119
	v_mul_f32_e32 v203, 0xbe8c1d8e, v136
	v_add_f32_e32 v3, v70, v3
	v_add_f32_e32 v149, v150, v149
	v_mov_b32_e32 v150, v203
	v_add_f32_e32 v0, v0, v3
	v_fmac_f32_e32 v72, 0xbf4c4adb, v117
	v_fmac_f32_e32 v150, 0xbf763a35, v120
	v_mul_f32_e32 v204, 0x3f3d2fb0, v137
	v_add_f32_e32 v0, v2, v0
	v_add_f32_e32 v2, v88, v72
	v_fmac_f32_e32 v105, 0x3f763a35, v118
	v_add_f32_e32 v149, v150, v149
	v_mov_b32_e32 v150, v204
	v_add_f32_e32 v2, v105, v2
	v_fmac_f32_e32 v153, 0xbeb8f4ab, v119
	v_fmac_f32_e32 v150, 0xbf2c7751, v121
	v_mul_f32_e32 v205, 0x3f6eb680, v138
	v_add_f32_e32 v2, v153, v2
	v_fmac_f32_e32 v154, 0xbf06c442, v120
	v_add_f32_e32 v149, v150, v149
	v_mov_b32_e32 v150, v205
	v_add_f32_e32 v2, v154, v2
	v_fmac_f32_e32 v155, 0x3f7ee86f, v121
	v_fmac_f32_e32 v150, 0x3eb8f4ab, v122
	v_mul_f32_e32 v206, 0x3dbcf732, v139
	;; [unrolled: 8-line block ×3, first 2 shown]
	v_add_f32_e32 v2, v157, v2
	v_fmac_f32_e32 v158, 0x3f65296c, v124
	v_add_f32_e32 v149, v150, v149
	v_mov_b32_e32 v150, v207
	v_add_f32_e32 v3, v158, v2
	v_fma_f32 v2, v125, s11, -v159
	v_fmac_f32_e32 v150, 0x3f06c442, v124
	v_mul_f32_e32 v208, 0xbf65296c, v141
	v_add_f32_e32 v2, v87, v2
	v_fma_f32 v48, v126, s19, -v160
	v_add_f32_e32 v150, v150, v149
	v_mov_b32_e32 v149, v208
	v_mul_f32_e32 v209, 0xbf4c4adb, v142
	v_add_f32_e32 v2, v48, v2
	v_fma_f32 v48, v127, s17, -v161
	v_fmac_f32_e32 v149, 0x3ee437d1, v125
	v_mov_b32_e32 v151, v209
	v_add_f32_e32 v2, v48, v2
	v_fma_f32 v48, v128, s8, -v162
	v_add_f32_e32 v149, v87, v149
	v_fmac_f32_e32 v151, 0xbf1a4643, v126
	v_mul_f32_e32 v210, 0x3e3c28d5, v143
	v_add_f32_e32 v2, v48, v2
	v_fma_f32 v48, v129, s10, -v163
	v_add_f32_e32 v149, v151, v149
	v_mov_b32_e32 v151, v210
	v_add_f32_e32 v2, v48, v2
	v_fma_f32 v48, v130, s18, -v164
	v_fmac_f32_e32 v151, 0xbf7ba420, v127
	v_mul_f32_e32 v211, 0x3f763a35, v144
	v_add_f32_e32 v2, v48, v2
	v_fma_f32 v48, v131, s16, -v165
	v_add_f32_e32 v149, v151, v149
	v_mov_b32_e32 v151, v211
	v_add_f32_e32 v2, v48, v2
	v_fma_f32 v48, v132, s9, -v166
	v_fmac_f32_e32 v167, 0xbf763a35, v117
	v_fmac_f32_e32 v151, 0xbe8c1d8e, v128
	v_mul_f32_e32 v212, 0x3f2c7751, v145
	v_add_f32_e32 v2, v48, v2
	v_add_f32_e32 v48, v88, v167
	v_fmac_f32_e32 v168, 0x3f06c442, v118
	v_add_f32_e32 v149, v151, v149
	v_mov_b32_e32 v151, v212
	v_add_f32_e32 v48, v168, v48
	v_fmac_f32_e32 v169, 0x3f2c7751, v119
	v_fmac_f32_e32 v151, 0x3f3d2fb0, v129
	v_mul_f32_e32 v213, 0xbeb8f4ab, v146
	v_add_f32_e32 v48, v169, v48
	v_fmac_f32_e32 v170, 0xbf65296c, v120
	v_add_f32_e32 v149, v151, v149
	v_mov_b32_e32 v151, v213
	v_add_f32_e32 v48, v170, v48
	v_fmac_f32_e32 v171, 0xbe3c28d5, v121
	v_fmac_f32_e32 v151, 0x3f6eb680, v130
	v_mul_f32_e32 v214, 0xbf7ee86f, v147
	;; [unrolled: 8-line block ×3, first 2 shown]
	v_add_f32_e32 v48, v174, v48
	v_fmac_f32_e32 v175, 0xbf4c4adb, v124
	v_add_f32_e32 v149, v151, v149
	v_mov_b32_e32 v151, v215
	v_add_f32_e32 v49, v175, v48
	v_fma_f32 v48, v125, s19, -v176
	v_fmac_f32_e32 v151, 0xbf59a7d5, v132
	v_mul_f32_e32 v216, 0x3f3d2fb0, v133
	v_add_f32_e32 v48, v87, v48
	v_fma_f32 v50, v126, s8, -v177
	v_add_f32_e32 v149, v151, v149
	v_mov_b32_e32 v151, v216
	v_mul_f32_e32 v217, 0x3dbcf732, v134
	v_add_f32_e32 v48, v50, v48
	v_fma_f32 v50, v127, s18, -v178
	v_fmac_f32_e32 v151, 0x3f2c7751, v117
	v_mov_b32_e32 v152, v217
	v_add_f32_e32 v48, v50, v48
	v_fma_f32 v50, v128, s9, -v179
	v_add_f32_e32 v151, v88, v151
	v_fmac_f32_e32 v152, 0x3f7ee86f, v118
	v_mul_f32_e32 v218, 0xbf1a4643, v135
	v_add_f32_e32 v48, v50, v48
	v_fma_f32 v50, v129, s16, -v180
	v_add_f32_e32 v151, v152, v151
	v_mov_b32_e32 v152, v218
	v_add_f32_e32 v48, v50, v48
	v_fma_f32 v50, v130, s10, -v181
	v_fmac_f32_e32 v152, 0x3f4c4adb, v119
	v_mul_f32_e32 v219, 0xbf7ba420, v136
	v_add_f32_e32 v48, v50, v48
	v_fma_f32 v50, v131, s17, -v182
	v_add_f32_e32 v151, v152, v151
	v_mov_b32_e32 v152, v219
	v_add_f32_e32 v48, v50, v48
	v_fma_f32 v50, v132, s11, -v183
	v_fmac_f32_e32 v184, 0xbf7ee86f, v117
	v_fmac_f32_e32 v152, 0x3e3c28d5, v120
	v_mul_f32_e32 v220, 0xbf59a7d5, v137
	v_add_f32_e32 v48, v50, v48
	v_add_f32_e32 v50, v88, v184
	v_fmac_f32_e32 v185, 0xbe3c28d5, v118
	v_add_f32_e32 v151, v152, v151
	v_mov_b32_e32 v152, v220
	v_add_f32_e32 v50, v185, v50
	v_fmac_f32_e32 v186, 0x3f763a35, v119
	v_fmac_f32_e32 v152, 0xbf06c442, v121
	v_mul_f32_e32 v221, 0xbe8c1d8e, v138
	v_add_f32_e32 v50, v186, v50
	v_fmac_f32_e32 v187, 0x3eb8f4ab, v120
	v_add_f32_e32 v151, v152, v151
	v_mov_b32_e32 v152, v221
	v_add_f32_e32 v50, v187, v50
	v_fmac_f32_e32 v188, 0xbf65296c, v121
	v_fmac_f32_e32 v152, 0xbf763a35, v122
	v_mul_f32_e32 v222, 0x3ee437d1, v139
	;; [unrolled: 8-line block ×3, first 2 shown]
	v_add_f32_e32 v50, v190, v50
	v_fmac_f32_e32 v191, 0x3f2c7751, v124
	v_add_f32_e32 v151, v152, v151
	v_mov_b32_e32 v152, v223
	v_add_f32_e32 v51, v191, v50
	v_fma_f32 v50, v125, s10, -v192
	v_fmac_f32_e32 v152, 0xbeb8f4ab, v124
	v_mul_f32_e32 v224, 0xbf2c7751, v141
	v_add_f32_e32 v50, v87, v50
	v_fma_f32 v52, v126, s16, -v193
	v_add_f32_e32 v152, v152, v151
	v_mov_b32_e32 v151, v224
	v_mul_f32_e32 v225, 0xbf7ee86f, v142
	v_add_f32_e32 v50, v52, v50
	v_fma_f32 v52, v127, s19, -v194
	v_fmac_f32_e32 v151, 0x3f3d2fb0, v125
	v_mov_b32_e32 v226, v225
	v_add_f32_e32 v50, v52, v50
	v_fma_f32 v52, v128, s17, -v195
	v_add_f32_e32 v151, v87, v151
	v_fmac_f32_e32 v226, 0x3dbcf732, v126
	v_add_f32_e32 v50, v52, v50
	v_fma_f32 v52, v129, s9, -v196
	v_add_f32_e32 v151, v226, v151
	v_mul_f32_e32 v226, 0xbf4c4adb, v143
	v_add_f32_e32 v50, v52, v50
	v_fma_f32 v52, v130, s8, -v197
	v_mov_b32_e32 v227, v226
	v_add_f32_e32 v50, v52, v50
	v_fma_f32 v52, v131, s11, -v198
	v_fmac_f32_e32 v227, 0xbf1a4643, v127
	v_add_f32_e32 v50, v52, v50
	v_fma_f32 v52, v132, s18, -v199
	v_fmac_f32_e32 v200, 0xbf65296c, v117
	v_add_f32_e32 v151, v227, v151
	v_mul_f32_e32 v227, 0xbe3c28d5, v144
	v_add_f32_e32 v50, v52, v50
	v_add_f32_e32 v52, v88, v200
	v_fmac_f32_e32 v201, 0xbf4c4adb, v118
	v_mov_b32_e32 v228, v227
	v_add_f32_e32 v52, v201, v52
	v_fmac_f32_e32 v202, 0x3e3c28d5, v119
	v_fmac_f32_e32 v228, 0xbf7ba420, v128
	v_add_f32_e32 v52, v202, v52
	v_fmac_f32_e32 v203, 0x3f763a35, v120
	v_add_f32_e32 v151, v228, v151
	v_mul_f32_e32 v228, 0x3f06c442, v145
	v_add_f32_e32 v52, v203, v52
	v_fmac_f32_e32 v204, 0x3f2c7751, v121
	v_mov_b32_e32 v229, v228
	v_add_f32_e32 v52, v204, v52
	v_fmac_f32_e32 v205, 0xbeb8f4ab, v122
	v_fmac_f32_e32 v229, 0xbf59a7d5, v129
	v_add_f32_e32 v52, v205, v52
	v_fmac_f32_e32 v206, 0xbf7ee86f, v123
	v_add_f32_e32 v151, v229, v151
	v_mul_f32_e32 v229, 0x3f763a35, v146
	v_add_f32_e32 v52, v206, v52
	v_fmac_f32_e32 v207, 0xbf06c442, v124
	v_mov_b32_e32 v230, v229
	v_add_f32_e32 v53, v207, v52
	v_fma_f32 v52, v125, s9, -v208
	v_fmac_f32_e32 v230, 0xbe8c1d8e, v130
	v_add_f32_e32 v52, v87, v52
	v_fma_f32 v54, v126, s11, -v209
	v_add_f32_e32 v151, v230, v151
	v_mul_f32_e32 v230, 0x3f65296c, v147
	v_add_f32_e32 v52, v54, v52
	v_fma_f32 v54, v127, s16, -v210
	v_mov_b32_e32 v231, v230
	v_add_f32_e32 v52, v54, v52
	v_fma_f32 v54, v128, s19, -v211
	v_fmac_f32_e32 v231, 0x3ee437d1, v131
	v_add_f32_e32 v52, v54, v52
	v_fma_f32 v54, v129, s18, -v212
	v_add_f32_e32 v151, v231, v151
	v_mul_f32_e32 v231, 0x3eb8f4ab, v148
	v_add_f32_e32 v52, v54, v52
	v_fma_f32 v54, v130, s17, -v213
	v_mov_b32_e32 v232, v231
	v_add_f32_e32 v52, v54, v52
	v_fma_f32 v54, v131, s10, -v214
	v_fmac_f32_e32 v232, 0x3f6eb680, v132
	v_add_f32_e32 v52, v54, v52
	v_fma_f32 v54, v132, s8, -v215
	v_fmac_f32_e32 v216, 0xbf2c7751, v117
	v_add_f32_e32 v151, v232, v151
	v_mul_f32_e32 v232, 0x3f6eb680, v133
	v_add_f32_e32 v52, v54, v52
	v_add_f32_e32 v54, v88, v216
	v_fmac_f32_e32 v217, 0xbf7ee86f, v118
	v_mov_b32_e32 v133, v232
	v_mul_f32_e32 v233, 0x3f3d2fb0, v134
	v_add_f32_e32 v54, v217, v54
	v_fmac_f32_e32 v218, 0xbf4c4adb, v119
	v_fmac_f32_e32 v133, 0x3eb8f4ab, v117
	v_mov_b32_e32 v134, v233
	v_add_f32_e32 v54, v218, v54
	v_fmac_f32_e32 v219, 0xbe3c28d5, v120
	v_add_f32_e32 v133, v88, v133
	v_fmac_f32_e32 v134, 0x3f2c7751, v118
	v_mul_f32_e32 v135, 0x3ee437d1, v135
	v_add_f32_e32 v54, v219, v54
	v_fmac_f32_e32 v220, 0x3f06c442, v121
	v_add_f32_e32 v133, v134, v133
	v_mov_b32_e32 v134, v135
	v_add_f32_e32 v54, v220, v54
	v_fmac_f32_e32 v221, 0x3f763a35, v122
	v_fmac_f32_e32 v134, 0x3f65296c, v119
	v_mul_f32_e32 v136, 0x3dbcf732, v136
	v_add_f32_e32 v54, v221, v54
	v_fmac_f32_e32 v222, 0x3f65296c, v123
	v_add_f32_e32 v133, v134, v133
	v_mov_b32_e32 v134, v136
	v_add_f32_e32 v54, v222, v54
	v_fmac_f32_e32 v223, 0x3eb8f4ab, v124
	v_fmac_f32_e32 v134, 0x3f7ee86f, v120
	v_mul_f32_e32 v137, 0xbe8c1d8e, v137
	v_add_f32_e32 v55, v223, v54
	v_fma_f32 v54, v125, s18, -v224
	v_add_f32_e32 v133, v134, v133
	v_mov_b32_e32 v134, v137
	v_add_f32_e32 v54, v87, v54
	v_fma_f32 v56, v126, s10, -v225
	v_fmac_f32_e32 v134, 0x3f763a35, v121
	v_mul_f32_e32 v138, 0xbf1a4643, v138
	v_add_f32_e32 v54, v56, v54
	v_fma_f32 v56, v127, s11, -v226
	v_add_f32_e32 v133, v134, v133
	v_mov_b32_e32 v134, v138
	v_add_f32_e32 v54, v56, v54
	v_fma_f32 v56, v128, s16, -v227
	v_fmac_f32_e32 v134, 0x3f4c4adb, v122
	v_mul_f32_e32 v139, 0xbf59a7d5, v139
	v_add_f32_e32 v54, v56, v54
	v_fma_f32 v56, v129, s8, -v228
	v_add_f32_e32 v133, v134, v133
	v_mov_b32_e32 v134, v139
	v_add_f32_e32 v54, v56, v54
	v_fma_f32 v56, v130, s19, -v229
	v_fmac_f32_e32 v134, 0x3f06c442, v123
	v_mul_f32_e32 v140, 0xbf7ba420, v140
	v_add_f32_e32 v54, v56, v54
	v_fma_f32 v56, v131, s9, -v230
	v_add_f32_e32 v133, v134, v133
	v_mov_b32_e32 v134, v140
	v_add_f32_e32 v54, v56, v54
	v_fma_f32 v56, v132, s17, -v231
	v_fmac_f32_e32 v232, 0xbeb8f4ab, v117
	v_fmac_f32_e32 v134, 0x3e3c28d5, v124
	v_mul_f32_e32 v141, 0xbeb8f4ab, v141
	v_add_f32_e32 v54, v56, v54
	v_add_f32_e32 v56, v88, v232
	v_fmac_f32_e32 v233, 0xbf2c7751, v118
	v_add_f32_e32 v134, v134, v133
	v_mov_b32_e32 v133, v141
	v_mul_f32_e32 v142, 0xbf2c7751, v142
	v_add_f32_e32 v56, v233, v56
	v_fmac_f32_e32 v135, 0xbf65296c, v119
	v_fmac_f32_e32 v133, 0x3f6eb680, v125
	v_mov_b32_e32 v234, v142
	v_add_f32_e32 v56, v135, v56
	v_fmac_f32_e32 v136, 0xbf7ee86f, v120
	v_add_f32_e32 v133, v87, v133
	v_fmac_f32_e32 v234, 0x3f3d2fb0, v126
	v_mul_f32_e32 v143, 0xbf65296c, v143
	v_add_f32_e32 v56, v136, v56
	v_fmac_f32_e32 v137, 0xbf763a35, v121
	v_add_f32_e32 v133, v234, v133
	v_mov_b32_e32 v234, v143
	v_add_f32_e32 v56, v137, v56
	v_fmac_f32_e32 v138, 0xbf4c4adb, v122
	v_fmac_f32_e32 v234, 0x3ee437d1, v127
	v_mul_f32_e32 v144, 0xbf7ee86f, v144
	v_add_f32_e32 v56, v138, v56
	v_fmac_f32_e32 v139, 0xbf06c442, v123
	v_add_f32_e32 v133, v234, v133
	v_mov_b32_e32 v234, v144
	v_add_f32_e32 v56, v139, v56
	v_fmac_f32_e32 v140, 0xbe3c28d5, v124
	v_fmac_f32_e32 v234, 0x3dbcf732, v128
	v_mul_f32_e32 v145, 0xbf763a35, v145
	v_add_f32_e32 v57, v140, v56
	v_fma_f32 v56, v125, s17, -v141
	v_add_f32_e32 v133, v234, v133
	v_mov_b32_e32 v234, v145
	v_add_f32_e32 v56, v87, v56
	v_fma_f32 v58, v126, s18, -v142
	v_fmac_f32_e32 v234, 0xbe8c1d8e, v129
	v_mul_f32_e32 v146, 0xbf4c4adb, v146
	v_add_f32_e32 v56, v58, v56
	v_fma_f32 v58, v127, s9, -v143
	v_add_f32_e32 v133, v234, v133
	v_mov_b32_e32 v234, v146
	v_add_f32_e32 v56, v58, v56
	v_fma_f32 v58, v128, s10, -v144
	;; [unrolled: 8-line block ×4, first 2 shown]
	v_fmac_f32_e32 v234, 0xbf7ba420, v132
	v_add_f32_e32 v56, v58, v56
	v_mul_lo_u16_e32 v58, 17, v103
	v_add_f32_e32 v133, v234, v133
	v_lshl_add_u32 v58, v58, 3, v235
	ds_write2_b64 v58, v[0:1], v[133:134] offset1:1
	ds_write2_b64 v58, v[151:152], v[149:150] offset0:2 offset1:3
	ds_write2_b64 v58, v[101:102], v[99:100] offset0:4 offset1:5
	;; [unrolled: 1-line block ×7, first 2 shown]
	ds_write_b64 v58, v[56:57] offset:128
.LBB0_13:
	s_or_b64 exec, exec, s[2:3]
	v_add_u32_e32 v68, 0x800, v107
	s_waitcnt lgkmcnt(0)
	s_barrier
	ds_read2_b64 v[48:51], v68 offset0:152 offset1:254
	v_add_u32_e32 v69, 0x1800, v107
	ds_read2_b64 v[52:55], v69 offset0:48 offset1:150
	v_add_u32_e32 v71, 0x1000, v107
	v_add_u32_e32 v72, 0x1c00, v107
	ds_read2_b64 v[60:63], v71 offset0:100 offset1:202
	ds_read2_b64 v[64:67], v72 offset0:124 offset1:226
	s_waitcnt lgkmcnt(3)
	v_mul_f32_e32 v73, v9, v49
	v_mul_f32_e32 v9, v9, v48
	v_add_u32_e32 v70, 0x400, v107
	v_fmac_f32_e32 v73, v8, v48
	v_fma_f32 v8, v8, v49, -v9
	s_waitcnt lgkmcnt(2)
	v_mul_f32_e32 v9, v11, v53
	v_mul_f32_e32 v11, v11, v52
	ds_read2_b64 v[56:59], v70 offset0:76 offset1:178
	v_fmac_f32_e32 v9, v10, v52
	v_fma_f32 v10, v10, v53, -v11
	v_mul_f32_e32 v11, v5, v51
	v_mul_f32_e32 v5, v5, v50
	ds_read2_b64 v[0:3], v107 offset1:102
	v_fmac_f32_e32 v11, v4, v50
	v_fma_f32 v48, v4, v51, -v5
	v_mul_f32_e32 v4, v7, v54
	v_fma_f32 v50, v6, v55, -v4
	s_waitcnt lgkmcnt(3)
	v_mul_f32_e32 v51, v13, v61
	v_mul_f32_e32 v4, v13, v60
	s_waitcnt lgkmcnt(2)
	v_mul_f32_e32 v53, v15, v65
	v_fmac_f32_e32 v51, v12, v60
	v_fma_f32 v52, v12, v61, -v4
	v_fmac_f32_e32 v53, v14, v64
	v_mul_f32_e32 v4, v15, v64
	v_mul_f32_e32 v49, v7, v55
	v_fma_f32 v15, v14, v65, -v4
	v_mul_f32_e32 v4, v17, v62
	v_add_f32_e32 v13, v51, v53
	v_fmac_f32_e32 v49, v6, v54
	v_mul_f32_e32 v54, v17, v63
	v_fma_f32 v55, v16, v63, -v4
	v_mul_f32_e32 v4, v19, v66
	v_add_f32_e32 v5, v73, v9
	s_waitcnt lgkmcnt(1)
	v_fma_f32 v14, -0.5, v13, v56
	v_fmac_f32_e32 v54, v16, v62
	v_fma_f32 v61, v18, v67, -v4
	s_waitcnt lgkmcnt(0)
	v_add_f32_e32 v4, v0, v73
	v_fma_f32 v0, -0.5, v5, v0
	v_sub_f32_e32 v13, v52, v15
	v_mov_b32_e32 v16, v14
	v_sub_f32_e32 v5, v8, v10
	v_mov_b32_e32 v6, v0
	v_add_f32_e32 v7, v8, v10
	v_fmac_f32_e32 v16, 0xbf5db3d7, v13
	v_fmac_f32_e32 v14, 0x3f5db3d7, v13
	v_add_f32_e32 v13, v57, v52
	v_mul_f32_e32 v60, v19, v67
	v_fmac_f32_e32 v6, 0xbf5db3d7, v5
	v_fmac_f32_e32 v0, 0x3f5db3d7, v5
	v_add_f32_e32 v5, v1, v8
	v_fma_f32 v1, -0.5, v7, v1
	v_add_f32_e32 v13, v13, v15
	v_add_f32_e32 v15, v52, v15
	v_fmac_f32_e32 v60, v18, v66
	v_add_f32_e32 v4, v4, v9
	v_sub_f32_e32 v8, v73, v9
	v_mov_b32_e32 v7, v1
	v_add_f32_e32 v9, v11, v49
	v_fma_f32 v15, -0.5, v15, v57
	v_fmac_f32_e32 v7, 0x3f5db3d7, v8
	v_fmac_f32_e32 v1, 0xbf5db3d7, v8
	v_add_f32_e32 v8, v2, v11
	v_fma_f32 v2, -0.5, v9, v2
	v_sub_f32_e32 v18, v51, v53
	v_mov_b32_e32 v17, v15
	v_add_f32_e32 v19, v54, v60
	v_add_f32_e32 v5, v5, v10
	v_sub_f32_e32 v9, v48, v50
	v_mov_b32_e32 v10, v2
	v_add_f32_e32 v12, v48, v50
	v_fmac_f32_e32 v17, 0x3f5db3d7, v18
	v_fmac_f32_e32 v15, 0xbf5db3d7, v18
	v_add_f32_e32 v18, v58, v54
	v_fma_f32 v58, -0.5, v19, v58
	v_add_f32_e32 v8, v8, v49
	v_fmac_f32_e32 v10, 0xbf5db3d7, v9
	v_fmac_f32_e32 v2, 0x3f5db3d7, v9
	v_add_f32_e32 v9, v3, v48
	v_fmac_f32_e32 v3, -0.5, v12
	v_sub_f32_e32 v12, v11, v49
	v_sub_f32_e32 v19, v55, v61
	v_mov_b32_e32 v48, v58
	v_add_f32_e32 v49, v55, v61
	v_mov_b32_e32 v11, v3
	v_fmac_f32_e32 v48, 0xbf5db3d7, v19
	v_fmac_f32_e32 v58, 0x3f5db3d7, v19
	v_add_f32_e32 v19, v59, v55
	v_fmac_f32_e32 v59, -0.5, v49
	v_add_f32_e32 v9, v9, v50
	v_fmac_f32_e32 v11, 0x3f5db3d7, v12
	v_fmac_f32_e32 v3, 0xbf5db3d7, v12
	v_add_f32_e32 v12, v56, v51
	v_sub_f32_e32 v50, v54, v60
	v_mov_b32_e32 v49, v59
	v_add_f32_e32 v12, v12, v53
	v_add_f32_e32 v18, v18, v60
	;; [unrolled: 1-line block ×3, first 2 shown]
	v_fmac_f32_e32 v49, 0x3f5db3d7, v50
	v_fmac_f32_e32 v59, 0xbf5db3d7, v50
	s_barrier
	ds_write2_b64 v108, v[4:5], v[6:7] offset1:17
	ds_write_b64 v108, v[0:1] offset:272
	ds_write2_b64 v109, v[8:9], v[10:11] offset1:17
	ds_write_b64 v109, v[2:3] offset:272
	;; [unrolled: 2-line block ×4, first 2 shown]
	s_waitcnt lgkmcnt(0)
	s_barrier
	ds_read2_b64 v[0:3], v107 offset1:102
	ds_read2_b64 v[4:7], v70 offset0:76 offset1:178
	ds_read2_b64 v[8:11], v71 offset0:100 offset1:202
	;; [unrolled: 1-line block ×5, first 2 shown]
	s_waitcnt lgkmcnt(4)
	v_mul_f32_e32 v52, v21, v7
	v_fmac_f32_e32 v52, v20, v6
	v_mul_f32_e32 v6, v21, v6
	v_fma_f32 v6, v20, v7, -v6
	s_waitcnt lgkmcnt(3)
	v_mul_f32_e32 v7, v23, v9
	v_fmac_f32_e32 v7, v22, v8
	v_mul_f32_e32 v8, v23, v8
	v_fma_f32 v8, v22, v9, -v8
	;; [unrolled: 5-line block ×4, first 2 shown]
	v_mul_f32_e32 v17, v27, v11
	v_fmac_f32_e32 v17, v26, v10
	v_mul_f32_e32 v10, v27, v10
	v_fma_f32 v20, v26, v11, -v10
	s_waitcnt lgkmcnt(0)
	v_mul_f32_e32 v10, v80, v48
	v_fma_f32 v22, v79, v49, -v10
	v_mul_f32_e32 v23, v29, v19
	v_mul_f32_e32 v10, v29, v18
	v_fmac_f32_e32 v23, v28, v18
	v_fma_f32 v18, v28, v19, -v10
	v_mul_f32_e32 v10, v31, v12
	v_mul_f32_e32 v19, v31, v13
	v_fma_f32 v24, v30, v13, -v10
	v_mul_f32_e32 v10, v82, v50
	v_mul_f32_e32 v21, v80, v49
	v_fmac_f32_e32 v19, v30, v12
	v_fma_f32 v26, v81, v51, -v10
	v_sub_f32_e32 v10, v0, v7
	v_sub_f32_e32 v11, v1, v8
	;; [unrolled: 1-line block ×4, first 2 shown]
	v_fmac_f32_e32 v21, v79, v48
	v_mul_f32_e32 v25, v82, v51
	v_fma_f32 v7, v0, 2.0, -v10
	v_fma_f32 v8, v1, 2.0, -v11
	;; [unrolled: 1-line block ×4, first 2 shown]
	v_fmac_f32_e32 v25, v81, v50
	v_sub_f32_e32 v0, v7, v0
	v_sub_f32_e32 v1, v8, v1
	;; [unrolled: 1-line block ×6, first 2 shown]
	v_fma_f32 v6, v7, 2.0, -v0
	v_fma_f32 v7, v8, 2.0, -v1
	v_add_f32_e32 v8, v10, v12
	v_fma_f32 v12, v2, 2.0, -v17
	v_fma_f32 v13, v3, 2.0, -v20
	;; [unrolled: 1-line block ×4, first 2 shown]
	v_add_f32_e32 v14, v17, v14
	v_sub_f32_e32 v15, v20, v21
	v_sub_f32_e32 v22, v4, v19
	;; [unrolled: 1-line block ×5, first 2 shown]
	v_fma_f32 v16, v17, 2.0, -v14
	v_fma_f32 v17, v20, 2.0, -v15
	;; [unrolled: 1-line block ×6, first 2 shown]
	v_sub_f32_e32 v4, v19, v4
	v_sub_f32_e32 v5, v20, v5
	;; [unrolled: 1-line block ×5, first 2 shown]
	v_fma_f32 v18, v19, 2.0, -v4
	v_fma_f32 v19, v20, 2.0, -v5
	v_add_f32_e32 v20, v22, v25
	v_sub_f32_e32 v21, v24, v21
	v_fma_f32 v10, v10, 2.0, -v8
	v_fma_f32 v11, v11, 2.0, -v9
	;; [unrolled: 1-line block ×6, first 2 shown]
	s_barrier
	ds_write2_b64 v112, v[6:7], v[10:11] offset1:51
	ds_write2_b64 v112, v[0:1], v[8:9] offset0:102 offset1:153
	ds_write2_b64 v113, v[12:13], v[16:17] offset1:51
	ds_write2_b64 v113, v[2:3], v[14:15] offset0:102 offset1:153
	;; [unrolled: 2-line block ×3, first 2 shown]
	s_waitcnt lgkmcnt(0)
	s_barrier
	ds_read2_b64 v[0:3], v107 offset1:102
	ds_read2_b64 v[4:7], v70 offset0:76 offset1:178
	ds_read2_b64 v[8:11], v68 offset0:152 offset1:254
	;; [unrolled: 1-line block ×5, first 2 shown]
	s_waitcnt lgkmcnt(4)
	v_mul_f32_e32 v24, v37, v5
	v_fmac_f32_e32 v24, v36, v4
	v_mul_f32_e32 v4, v37, v4
	v_fma_f32 v25, v36, v5, -v4
	s_waitcnt lgkmcnt(3)
	v_mul_f32_e32 v4, v39, v9
	v_fmac_f32_e32 v4, v38, v8
	v_mul_f32_e32 v5, v39, v8
	s_waitcnt lgkmcnt(2)
	v_mul_f32_e32 v8, v33, v13
	v_fma_f32 v5, v38, v9, -v5
	v_fmac_f32_e32 v8, v32, v12
	v_mul_f32_e32 v9, v33, v12
	s_waitcnt lgkmcnt(1)
	v_mul_f32_e32 v12, v35, v17
	v_fma_f32 v9, v32, v13, -v9
	;; [unrolled: 5-line block ×3, first 2 shown]
	v_fmac_f32_e32 v16, v83, v20
	v_mul_f32_e32 v17, v84, v20
	v_mul_f32_e32 v20, v45, v7
	v_fmac_f32_e32 v20, v44, v6
	v_mul_f32_e32 v6, v45, v6
	v_fma_f32 v17, v83, v21, -v17
	v_fma_f32 v21, v44, v7, -v6
	v_mul_f32_e32 v6, v47, v10
	v_fma_f32 v27, v46, v11, -v6
	v_mul_f32_e32 v28, v41, v15
	v_mul_f32_e32 v6, v41, v14
	v_fmac_f32_e32 v28, v40, v14
	v_fma_f32 v14, v40, v15, -v6
	v_mul_f32_e32 v15, v43, v19
	v_mul_f32_e32 v6, v43, v18
	v_fmac_f32_e32 v15, v42, v18
	v_fma_f32 v18, v42, v19, -v6
	v_mul_f32_e32 v19, v86, v23
	v_mul_f32_e32 v6, v86, v22
	;; [unrolled: 1-line block ×3, first 2 shown]
	v_fmac_f32_e32 v19, v85, v22
	v_fma_f32 v22, v85, v23, -v6
	v_add_f32_e32 v6, v0, v4
	v_fmac_f32_e32 v26, v46, v10
	v_add_f32_e32 v10, v6, v12
	v_add_f32_e32 v6, v4, v12
	v_fma_f32 v11, -0.5, v6, v0
	v_sub_f32_e32 v0, v5, v13
	v_mov_b32_e32 v23, v11
	v_fmac_f32_e32 v23, 0xbf5db3d7, v0
	v_fmac_f32_e32 v11, 0x3f5db3d7, v0
	v_add_f32_e32 v0, v1, v5
	v_add_f32_e32 v29, v0, v13
	;; [unrolled: 1-line block ×3, first 2 shown]
	v_fma_f32 v13, -0.5, v0, v1
	v_sub_f32_e32 v0, v4, v12
	v_mov_b32_e32 v30, v13
	v_fmac_f32_e32 v30, 0x3f5db3d7, v0
	v_fmac_f32_e32 v13, 0xbf5db3d7, v0
	v_add_f32_e32 v0, v24, v8
	v_add_f32_e32 v12, v0, v16
	;; [unrolled: 1-line block ×3, first 2 shown]
	v_fmac_f32_e32 v24, -0.5, v0
	v_sub_f32_e32 v0, v9, v17
	v_mov_b32_e32 v5, v24
	v_fmac_f32_e32 v5, 0xbf5db3d7, v0
	v_fmac_f32_e32 v24, 0x3f5db3d7, v0
	v_add_f32_e32 v0, v25, v9
	v_add_f32_e32 v31, v0, v17
	;; [unrolled: 1-line block ×3, first 2 shown]
	v_fmac_f32_e32 v25, -0.5, v0
	v_sub_f32_e32 v0, v8, v16
	v_mov_b32_e32 v7, v25
	v_fmac_f32_e32 v25, 0xbf5db3d7, v0
	v_fmac_f32_e32 v7, 0x3f5db3d7, v0
	v_mul_f32_e32 v16, 0xbf5db3d7, v25
	v_mul_f32_e32 v9, 0xbf5db3d7, v7
	v_fmac_f32_e32 v16, -0.5, v24
	v_add_f32_e32 v0, v10, v12
	v_fmac_f32_e32 v9, 0.5, v5
	v_add_f32_e32 v6, v11, v16
	v_sub_f32_e32 v8, v10, v12
	v_sub_f32_e32 v12, v11, v16
	v_add_f32_e32 v16, v2, v26
	v_add_f32_e32 v4, v23, v9
	v_sub_f32_e32 v10, v23, v9
	v_add_f32_e32 v23, v16, v15
	v_add_f32_e32 v16, v26, v15
	v_mul_f32_e32 v25, -0.5, v25
	v_fma_f32 v2, -0.5, v16, v2
	v_fmac_f32_e32 v25, 0x3f5db3d7, v24
	v_sub_f32_e32 v16, v27, v18
	v_mov_b32_e32 v24, v2
	v_fmac_f32_e32 v24, 0xbf5db3d7, v16
	v_fmac_f32_e32 v2, 0x3f5db3d7, v16
	v_add_f32_e32 v16, v3, v27
	v_mul_f32_e32 v17, 0.5, v7
	v_add_f32_e32 v7, v13, v25
	v_sub_f32_e32 v13, v13, v25
	v_add_f32_e32 v25, v16, v18
	v_add_f32_e32 v16, v27, v18
	v_fmac_f32_e32 v3, -0.5, v16
	v_sub_f32_e32 v15, v26, v15
	v_mov_b32_e32 v26, v3
	v_fmac_f32_e32 v26, 0x3f5db3d7, v15
	v_fmac_f32_e32 v3, 0xbf5db3d7, v15
	v_add_f32_e32 v15, v20, v28
	v_add_f32_e32 v27, v15, v19
	;; [unrolled: 1-line block ×3, first 2 shown]
	v_fmac_f32_e32 v17, 0x3f5db3d7, v5
	v_fmac_f32_e32 v20, -0.5, v15
	v_add_f32_e32 v5, v30, v17
	v_sub_f32_e32 v11, v30, v17
	v_sub_f32_e32 v15, v14, v22
	v_mov_b32_e32 v17, v20
	v_fmac_f32_e32 v17, 0xbf5db3d7, v15
	v_fmac_f32_e32 v20, 0x3f5db3d7, v15
	v_add_f32_e32 v15, v21, v14
	v_add_f32_e32 v14, v14, v22
	v_fmac_f32_e32 v21, -0.5, v14
	v_sub_f32_e32 v14, v28, v19
	v_mov_b32_e32 v19, v21
	v_fmac_f32_e32 v19, 0x3f5db3d7, v14
	v_fmac_f32_e32 v21, 0xbf5db3d7, v14
	v_add_f32_e32 v1, v29, v31
	v_sub_f32_e32 v9, v29, v31
	v_add_f32_e32 v29, v15, v22
	v_mul_f32_e32 v22, 0xbf5db3d7, v19
	v_mul_f32_e32 v28, 0xbf5db3d7, v21
	v_mul_f32_e32 v30, 0.5, v19
	v_mul_f32_e32 v31, -0.5, v21
	v_fmac_f32_e32 v22, 0.5, v17
	v_fmac_f32_e32 v28, -0.5, v20
	v_fmac_f32_e32 v30, 0x3f5db3d7, v17
	v_fmac_f32_e32 v31, 0x3f5db3d7, v20
	ds_write_b64 v115, v[0:1]
	v_add_u32_e32 v1, 0xc00, v106
	v_add_u32_e32 v0, 0x1800, v106
	v_add_f32_e32 v14, v23, v27
	v_add_f32_e32 v16, v24, v22
	;; [unrolled: 1-line block ×6, first 2 shown]
	ds_write2_b64 v1, v[6:7], v[8:9] offset0:24 offset1:228
	ds_write2_b64 v0, v[10:11], v[12:13] offset0:48 offset1:252
	;; [unrolled: 1-line block ×3, first 2 shown]
	v_add_u32_e32 v4, 0x600, v116
	s_movk_i32 s2, 0x1000
	v_sub_f32_e32 v20, v23, v27
	v_sub_f32_e32 v22, v24, v22
	;; [unrolled: 1-line block ×4, first 2 shown]
	ds_write2_b64 v4, v[16:17], v[18:19] offset0:12 offset1:216
	v_add_u32_e32 v4, 0x1200, v116
	v_sub_f32_e32 v2, v2, v28
	v_sub_f32_e32 v3, v3, v31
	ds_write2_b64 v4, v[20:21], v[22:23] offset0:36 offset1:240
	ds_write_b64 v116, v[2:3] offset:8160
	s_waitcnt lgkmcnt(0)
	s_barrier
	s_and_b64 exec, exec, s[0:1]
	s_cbranch_execz .LBB0_15
; %bb.14:
	global_load_dwordx2 v[2:3], v104, s[12:13]
	ds_read_b64 v[6:7], v115
	v_mad_u64_u32 v[4:5], s[0:1], s6, v172, 0
	v_mad_u64_u32 v[8:9], s[0:1], s4, v103, 0
	s_waitcnt lgkmcnt(0)
	v_mad_u64_u32 v[10:11], s[6:7], s7, v172, v[5:6]
	s_mov_b32 s0, 0x1ac5701b
	s_mov_b32 s1, 0x3f4ac570
	v_mad_u64_u32 v[11:12], s[6:7], s5, v103, v[9:10]
	v_mov_b32_e32 v13, s15
	s_mul_i32 s6, s5, 0x240
	v_mov_b32_e32 v9, v11
	v_lshlrev_b64 v[8:9], 3, v[8:9]
	s_mul_hi_u32 s7, s4, 0x240
	s_mul_i32 s3, s4, 0x240
	s_add_i32 s6, s7, s6
	v_mov_b32_e32 v15, s6
	s_waitcnt vmcnt(0)
	v_mul_f32_e32 v5, v7, v3
	v_mul_f32_e32 v3, v6, v3
	v_fmac_f32_e32 v5, v6, v2
	v_fma_f32 v6, v2, v7, -v3
	v_cvt_f64_f32_e32 v[2:3], v5
	v_cvt_f64_f32_e32 v[6:7], v6
	v_mov_b32_e32 v5, v10
	v_lshlrev_b64 v[4:5], 3, v[4:5]
	v_mul_f64 v[2:3], v[2:3], s[0:1]
	v_mul_f64 v[6:7], v[6:7], s[0:1]
	v_add_co_u32_e32 v11, vcc, s14, v4
	v_addc_co_u32_e32 v12, vcc, v13, v5, vcc
	v_cvt_f32_f64_e32 v2, v[2:3]
	v_cvt_f32_f64_e32 v3, v[6:7]
	v_add_co_u32_e32 v6, vcc, v11, v8
	v_addc_co_u32_e32 v7, vcc, v12, v9, vcc
	global_store_dwordx2 v[6:7], v[2:3], off
	global_load_dwordx2 v[8:9], v104, s[12:13] offset:576
	ds_read2_b64 v[2:5], v106 offset0:72 offset1:144
	v_add_co_u32_e32 v6, vcc, s3, v6
	s_waitcnt vmcnt(0) lgkmcnt(0)
	v_mul_f32_e32 v10, v3, v9
	v_mul_f32_e32 v9, v2, v9
	v_fmac_f32_e32 v10, v2, v8
	v_fma_f32 v8, v8, v3, -v9
	v_cvt_f64_f32_e32 v[2:3], v10
	v_cvt_f64_f32_e32 v[8:9], v8
	v_mov_b32_e32 v10, s6
	v_addc_co_u32_e32 v7, vcc, v7, v10, vcc
	v_mul_f64 v[2:3], v[2:3], s[0:1]
	v_mul_f64 v[8:9], v[8:9], s[0:1]
	v_cvt_f32_f64_e32 v2, v[2:3]
	v_cvt_f32_f64_e32 v3, v[8:9]
	global_store_dwordx2 v[6:7], v[2:3], off
	global_load_dwordx2 v[2:3], v104, s[12:13] offset:1152
	v_add_co_u32_e32 v6, vcc, s3, v6
	s_waitcnt vmcnt(0)
	v_mul_f32_e32 v8, v5, v3
	v_mul_f32_e32 v3, v4, v3
	v_fmac_f32_e32 v8, v4, v2
	v_fma_f32 v4, v2, v5, -v3
	v_cvt_f64_f32_e32 v[2:3], v8
	v_cvt_f64_f32_e32 v[4:5], v4
	v_mov_b32_e32 v8, s6
	v_addc_co_u32_e32 v7, vcc, v7, v8, vcc
	v_mul_f64 v[2:3], v[2:3], s[0:1]
	v_mul_f64 v[4:5], v[4:5], s[0:1]
	v_cvt_f32_f64_e32 v2, v[2:3]
	v_cvt_f32_f64_e32 v3, v[4:5]
	global_store_dwordx2 v[6:7], v[2:3], off
	global_load_dwordx2 v[8:9], v104, s[12:13] offset:1728
	v_add_u32_e32 v2, 0x400, v106
	ds_read2_b64 v[2:5], v2 offset0:88 offset1:160
	v_add_co_u32_e32 v6, vcc, s3, v6
	s_waitcnt vmcnt(0) lgkmcnt(0)
	v_mul_f32_e32 v10, v3, v9
	v_mul_f32_e32 v9, v2, v9
	v_fmac_f32_e32 v10, v2, v8
	v_fma_f32 v8, v8, v3, -v9
	v_cvt_f64_f32_e32 v[2:3], v10
	v_cvt_f64_f32_e32 v[8:9], v8
	v_mov_b32_e32 v10, s6
	v_addc_co_u32_e32 v7, vcc, v7, v10, vcc
	v_mul_f64 v[2:3], v[2:3], s[0:1]
	v_mul_f64 v[8:9], v[8:9], s[0:1]
	v_cvt_f32_f64_e32 v2, v[2:3]
	v_cvt_f32_f64_e32 v3, v[8:9]
	global_store_dwordx2 v[6:7], v[2:3], off
	global_load_dwordx2 v[2:3], v104, s[12:13] offset:2304
	v_add_co_u32_e32 v6, vcc, s3, v6
	s_waitcnt vmcnt(0)
	v_mul_f32_e32 v8, v5, v3
	v_mul_f32_e32 v3, v4, v3
	v_fmac_f32_e32 v8, v4, v2
	v_fma_f32 v4, v2, v5, -v3
	v_cvt_f64_f32_e32 v[2:3], v8
	v_cvt_f64_f32_e32 v[4:5], v4
	v_mov_b32_e32 v8, s6
	v_addc_co_u32_e32 v7, vcc, v7, v8, vcc
	v_mul_f64 v[2:3], v[2:3], s[0:1]
	v_mul_f64 v[4:5], v[4:5], s[0:1]
	v_cvt_f32_f64_e32 v2, v[2:3]
	v_cvt_f32_f64_e32 v3, v[4:5]
	global_store_dwordx2 v[6:7], v[2:3], off
	global_load_dwordx2 v[8:9], v104, s[12:13] offset:2880
	v_add_u32_e32 v2, 0x800, v106
	ds_read2_b64 v[2:5], v2 offset0:104 offset1:176
	v_add_co_u32_e32 v6, vcc, s3, v6
	s_waitcnt vmcnt(0) lgkmcnt(0)
	v_mul_f32_e32 v10, v3, v9
	v_mul_f32_e32 v9, v2, v9
	v_fmac_f32_e32 v10, v2, v8
	v_fma_f32 v8, v8, v3, -v9
	v_cvt_f64_f32_e32 v[2:3], v10
	v_cvt_f64_f32_e32 v[8:9], v8
	v_mov_b32_e32 v10, s6
	v_addc_co_u32_e32 v7, vcc, v7, v10, vcc
	v_mul_f64 v[2:3], v[2:3], s[0:1]
	v_mul_f64 v[8:9], v[8:9], s[0:1]
	v_cvt_f32_f64_e32 v2, v[2:3]
	v_cvt_f32_f64_e32 v3, v[8:9]
	global_store_dwordx2 v[6:7], v[2:3], off
	global_load_dwordx2 v[2:3], v104, s[12:13] offset:3456
	s_waitcnt vmcnt(0)
	v_mul_f32_e32 v8, v5, v3
	v_mul_f32_e32 v3, v4, v3
	v_fmac_f32_e32 v8, v4, v2
	v_fma_f32 v4, v2, v5, -v3
	v_cvt_f64_f32_e32 v[2:3], v8
	v_cvt_f64_f32_e32 v[4:5], v4
	v_mov_b32_e32 v8, s6
	v_mul_f64 v[2:3], v[2:3], s[0:1]
	v_mul_f64 v[4:5], v[4:5], s[0:1]
	v_cvt_f32_f64_e32 v2, v[2:3]
	v_cvt_f32_f64_e32 v3, v[4:5]
	v_add_co_u32_e32 v5, vcc, s3, v6
	v_addc_co_u32_e32 v6, vcc, v7, v8, vcc
	global_store_dwordx2 v[5:6], v[2:3], off
	global_load_dwordx2 v[7:8], v104, s[12:13] offset:4032
	ds_read2_b64 v[1:4], v1 offset0:120 offset1:192
	v_add_co_u32_e32 v13, vcc, s12, v104
	s_waitcnt vmcnt(0) lgkmcnt(0)
	v_mul_f32_e32 v9, v2, v8
	v_mul_f32_e32 v8, v1, v8
	v_fmac_f32_e32 v9, v1, v7
	v_fma_f32 v7, v7, v2, -v8
	v_cvt_f64_f32_e32 v[1:2], v9
	v_cvt_f64_f32_e32 v[7:8], v7
	v_mov_b32_e32 v9, s13
	v_addc_co_u32_e32 v14, vcc, 0, v9, vcc
	v_mul_f64 v[1:2], v[1:2], s[0:1]
	v_mul_f64 v[7:8], v[7:8], s[0:1]
	v_add_co_u32_e32 v9, vcc, s2, v13
	v_addc_co_u32_e32 v10, vcc, 0, v14, vcc
	v_add_co_u32_e32 v5, vcc, s3, v5
	v_cvt_f32_f64_e32 v1, v[1:2]
	v_cvt_f32_f64_e32 v2, v[7:8]
	v_addc_co_u32_e32 v6, vcc, v6, v15, vcc
	s_movk_i32 s2, 0x2000
	global_store_dwordx2 v[5:6], v[1:2], off
	global_load_dwordx2 v[1:2], v[9:10], off offset:512
	v_add_co_u32_e32 v5, vcc, s3, v5
	s_waitcnt vmcnt(0)
	v_mul_f32_e32 v7, v4, v2
	v_mul_f32_e32 v2, v3, v2
	v_fmac_f32_e32 v7, v3, v1
	v_fma_f32 v3, v1, v4, -v2
	v_cvt_f64_f32_e32 v[1:2], v7
	v_cvt_f64_f32_e32 v[3:4], v3
	v_mov_b32_e32 v7, s6
	v_addc_co_u32_e32 v6, vcc, v6, v7, vcc
	v_mul_f64 v[1:2], v[1:2], s[0:1]
	v_mul_f64 v[3:4], v[3:4], s[0:1]
	v_cvt_f32_f64_e32 v1, v[1:2]
	v_cvt_f32_f64_e32 v2, v[3:4]
	global_store_dwordx2 v[5:6], v[1:2], off
	global_load_dwordx2 v[7:8], v[9:10], off offset:1088
	v_add_u32_e32 v1, 0x1000, v106
	ds_read2_b64 v[1:4], v1 offset0:136 offset1:208
	v_add_co_u32_e32 v5, vcc, s3, v5
	s_waitcnt vmcnt(0) lgkmcnt(0)
	v_mul_f32_e32 v15, v2, v8
	v_mul_f32_e32 v8, v1, v8
	v_fmac_f32_e32 v15, v1, v7
	v_fma_f32 v7, v7, v2, -v8
	v_cvt_f64_f32_e32 v[1:2], v15
	v_cvt_f64_f32_e32 v[7:8], v7
	v_mov_b32_e32 v15, s6
	v_addc_co_u32_e32 v6, vcc, v6, v15, vcc
	v_mul_f64 v[1:2], v[1:2], s[0:1]
	v_mul_f64 v[7:8], v[7:8], s[0:1]
	v_cvt_f32_f64_e32 v1, v[1:2]
	v_cvt_f32_f64_e32 v2, v[7:8]
	global_store_dwordx2 v[5:6], v[1:2], off
	global_load_dwordx2 v[1:2], v[9:10], off offset:1664
	v_add_co_u32_e32 v5, vcc, s3, v5
	s_waitcnt vmcnt(0)
	v_mul_f32_e32 v7, v4, v2
	v_mul_f32_e32 v2, v3, v2
	v_fmac_f32_e32 v7, v3, v1
	v_fma_f32 v3, v1, v4, -v2
	v_cvt_f64_f32_e32 v[1:2], v7
	v_cvt_f64_f32_e32 v[3:4], v3
	v_mov_b32_e32 v7, s6
	v_addc_co_u32_e32 v6, vcc, v6, v7, vcc
	v_mul_f64 v[1:2], v[1:2], s[0:1]
	v_mul_f64 v[3:4], v[3:4], s[0:1]
	v_cvt_f32_f64_e32 v1, v[1:2]
	v_cvt_f32_f64_e32 v2, v[3:4]
	global_store_dwordx2 v[5:6], v[1:2], off
	global_load_dwordx2 v[7:8], v[9:10], off offset:2240
	ds_read2_b64 v[1:4], v0 offset0:24 offset1:96
	v_add_co_u32_e32 v5, vcc, s3, v5
	s_waitcnt vmcnt(0) lgkmcnt(0)
	v_mul_f32_e32 v15, v2, v8
	v_mul_f32_e32 v8, v1, v8
	v_fmac_f32_e32 v15, v1, v7
	v_fma_f32 v7, v7, v2, -v8
	v_cvt_f64_f32_e32 v[1:2], v15
	v_cvt_f64_f32_e32 v[7:8], v7
	v_mov_b32_e32 v15, s6
	v_addc_co_u32_e32 v6, vcc, v6, v15, vcc
	v_mul_f64 v[1:2], v[1:2], s[0:1]
	v_mul_f64 v[7:8], v[7:8], s[0:1]
	v_cvt_f32_f64_e32 v1, v[1:2]
	v_cvt_f32_f64_e32 v2, v[7:8]
	global_store_dwordx2 v[5:6], v[1:2], off
	global_load_dwordx2 v[1:2], v[9:10], off offset:2816
	s_waitcnt vmcnt(0)
	v_mul_f32_e32 v7, v4, v2
	v_mul_f32_e32 v2, v3, v2
	v_fmac_f32_e32 v7, v3, v1
	v_fma_f32 v3, v1, v4, -v2
	v_cvt_f64_f32_e32 v[1:2], v7
	v_cvt_f64_f32_e32 v[3:4], v3
	v_mov_b32_e32 v7, s6
	v_mul_f64 v[1:2], v[1:2], s[0:1]
	v_mul_f64 v[3:4], v[3:4], s[0:1]
	v_cvt_f32_f64_e32 v1, v[1:2]
	v_cvt_f32_f64_e32 v2, v[3:4]
	v_add_co_u32_e32 v4, vcc, s3, v5
	v_addc_co_u32_e32 v5, vcc, v6, v7, vcc
	global_store_dwordx2 v[4:5], v[1:2], off
	global_load_dwordx2 v[6:7], v[9:10], off offset:3392
	ds_read2_b64 v[0:3], v0 offset0:168 offset1:240
	v_add_co_u32_e32 v4, vcc, s3, v4
	s_waitcnt vmcnt(0) lgkmcnt(0)
	v_mul_f32_e32 v8, v1, v7
	v_mul_f32_e32 v7, v0, v7
	v_fmac_f32_e32 v8, v0, v6
	v_fma_f32 v6, v6, v1, -v7
	v_cvt_f64_f32_e32 v[0:1], v8
	v_cvt_f64_f32_e32 v[6:7], v6
	v_mov_b32_e32 v8, s6
	v_addc_co_u32_e32 v5, vcc, v5, v8, vcc
	v_mul_f64 v[0:1], v[0:1], s[0:1]
	v_mul_f64 v[6:7], v[6:7], s[0:1]
	v_cvt_f32_f64_e32 v0, v[0:1]
	v_cvt_f32_f64_e32 v1, v[6:7]
	global_store_dwordx2 v[4:5], v[0:1], off
	global_load_dwordx2 v[0:1], v[9:10], off offset:3968
	v_mov_b32_e32 v10, s6
	s_waitcnt vmcnt(0)
	v_mul_f32_e32 v6, v3, v1
	v_mul_f32_e32 v1, v2, v1
	v_fmac_f32_e32 v6, v2, v0
	v_fma_f32 v2, v0, v3, -v1
	v_cvt_f64_f32_e32 v[0:1], v6
	v_cvt_f64_f32_e32 v[2:3], v2
	v_add_co_u32_e32 v6, vcc, s2, v13
	v_mul_f64 v[0:1], v[0:1], s[0:1]
	v_mul_f64 v[2:3], v[2:3], s[0:1]
	v_addc_co_u32_e32 v7, vcc, 0, v14, vcc
	v_add_co_u32_e32 v4, vcc, s3, v4
	v_addc_co_u32_e32 v5, vcc, v5, v8, vcc
	v_cvt_f32_f64_e32 v0, v[0:1]
	v_cvt_f32_f64_e32 v1, v[2:3]
	global_store_dwordx2 v[4:5], v[0:1], off
	global_load_dwordx2 v[6:7], v[6:7], off offset:448
	v_add_u32_e32 v0, 0x2000, v106
	ds_read2_b64 v[0:3], v0 offset0:56 offset1:128
	v_add_co_u32_e32 v4, vcc, s3, v4
	v_addc_co_u32_e32 v5, vcc, v5, v10, vcc
	s_waitcnt vmcnt(0) lgkmcnt(0)
	v_mul_f32_e32 v8, v1, v7
	v_mul_f32_e32 v7, v0, v7
	v_fmac_f32_e32 v8, v0, v6
	v_fma_f32 v6, v6, v1, -v7
	v_cvt_f64_f32_e32 v[0:1], v8
	v_cvt_f64_f32_e32 v[6:7], v6
	v_or_b32_e32 v8, 0x480, v103
	v_lshlrev_b32_e32 v9, 3, v8
	v_mul_f64 v[0:1], v[0:1], s[0:1]
	v_mul_f64 v[6:7], v[6:7], s[0:1]
	v_cvt_f32_f64_e32 v0, v[0:1]
	v_cvt_f32_f64_e32 v1, v[6:7]
	global_store_dwordx2 v[4:5], v[0:1], off
	global_load_dwordx2 v[0:1], v9, s[12:13]
	v_mad_u64_u32 v[4:5], s[2:3], s4, v8, 0
	s_waitcnt vmcnt(0)
	v_mul_f32_e32 v6, v3, v1
	v_mul_f32_e32 v1, v2, v1
	v_fmac_f32_e32 v6, v2, v0
	v_fma_f32 v2, v0, v3, -v1
	v_cvt_f64_f32_e32 v[0:1], v6
	v_cvt_f64_f32_e32 v[2:3], v2
	v_mul_f64 v[0:1], v[0:1], s[0:1]
	v_mul_f64 v[2:3], v[2:3], s[0:1]
	v_mad_u64_u32 v[5:6], s[0:1], s5, v8, v[5:6]
	v_lshlrev_b64 v[4:5], 3, v[4:5]
	v_cvt_f32_f64_e32 v0, v[0:1]
	v_cvt_f32_f64_e32 v1, v[2:3]
	v_add_co_u32_e32 v2, vcc, v11, v4
	v_addc_co_u32_e32 v3, vcc, v12, v5, vcc
	global_store_dwordx2 v[2:3], v[0:1], off
.LBB0_15:
	s_endpgm
	.section	.rodata,"a",@progbits
	.p2align	6, 0x0
	.amdhsa_kernel bluestein_single_back_len1224_dim1_sp_op_CI_CI
		.amdhsa_group_segment_fixed_size 19584
		.amdhsa_private_segment_fixed_size 0
		.amdhsa_kernarg_size 104
		.amdhsa_user_sgpr_count 6
		.amdhsa_user_sgpr_private_segment_buffer 1
		.amdhsa_user_sgpr_dispatch_ptr 0
		.amdhsa_user_sgpr_queue_ptr 0
		.amdhsa_user_sgpr_kernarg_segment_ptr 1
		.amdhsa_user_sgpr_dispatch_id 0
		.amdhsa_user_sgpr_flat_scratch_init 0
		.amdhsa_user_sgpr_private_segment_size 0
		.amdhsa_uses_dynamic_stack 0
		.amdhsa_system_sgpr_private_segment_wavefront_offset 0
		.amdhsa_system_sgpr_workgroup_id_x 1
		.amdhsa_system_sgpr_workgroup_id_y 0
		.amdhsa_system_sgpr_workgroup_id_z 0
		.amdhsa_system_sgpr_workgroup_info 0
		.amdhsa_system_vgpr_workitem_id 0
		.amdhsa_next_free_vgpr 256
		.amdhsa_next_free_sgpr 20
		.amdhsa_reserve_vcc 1
		.amdhsa_reserve_flat_scratch 0
		.amdhsa_float_round_mode_32 0
		.amdhsa_float_round_mode_16_64 0
		.amdhsa_float_denorm_mode_32 3
		.amdhsa_float_denorm_mode_16_64 3
		.amdhsa_dx10_clamp 1
		.amdhsa_ieee_mode 1
		.amdhsa_fp16_overflow 0
		.amdhsa_exception_fp_ieee_invalid_op 0
		.amdhsa_exception_fp_denorm_src 0
		.amdhsa_exception_fp_ieee_div_zero 0
		.amdhsa_exception_fp_ieee_overflow 0
		.amdhsa_exception_fp_ieee_underflow 0
		.amdhsa_exception_fp_ieee_inexact 0
		.amdhsa_exception_int_div_zero 0
	.end_amdhsa_kernel
	.text
.Lfunc_end0:
	.size	bluestein_single_back_len1224_dim1_sp_op_CI_CI, .Lfunc_end0-bluestein_single_back_len1224_dim1_sp_op_CI_CI
                                        ; -- End function
	.section	.AMDGPU.csdata,"",@progbits
; Kernel info:
; codeLenInByte = 19216
; NumSgprs: 24
; NumVgprs: 256
; ScratchSize: 0
; MemoryBound: 0
; FloatMode: 240
; IeeeMode: 1
; LDSByteSize: 19584 bytes/workgroup (compile time only)
; SGPRBlocks: 2
; VGPRBlocks: 63
; NumSGPRsForWavesPerEU: 24
; NumVGPRsForWavesPerEU: 256
; Occupancy: 1
; WaveLimiterHint : 1
; COMPUTE_PGM_RSRC2:SCRATCH_EN: 0
; COMPUTE_PGM_RSRC2:USER_SGPR: 6
; COMPUTE_PGM_RSRC2:TRAP_HANDLER: 0
; COMPUTE_PGM_RSRC2:TGID_X_EN: 1
; COMPUTE_PGM_RSRC2:TGID_Y_EN: 0
; COMPUTE_PGM_RSRC2:TGID_Z_EN: 0
; COMPUTE_PGM_RSRC2:TIDIG_COMP_CNT: 0
	.type	__hip_cuid_3e3b9877f836b0b9,@object ; @__hip_cuid_3e3b9877f836b0b9
	.section	.bss,"aw",@nobits
	.globl	__hip_cuid_3e3b9877f836b0b9
__hip_cuid_3e3b9877f836b0b9:
	.byte	0                               ; 0x0
	.size	__hip_cuid_3e3b9877f836b0b9, 1

	.ident	"AMD clang version 19.0.0git (https://github.com/RadeonOpenCompute/llvm-project roc-6.4.0 25133 c7fe45cf4b819c5991fe208aaa96edf142730f1d)"
	.section	".note.GNU-stack","",@progbits
	.addrsig
	.addrsig_sym __hip_cuid_3e3b9877f836b0b9
	.amdgpu_metadata
---
amdhsa.kernels:
  - .args:
      - .actual_access:  read_only
        .address_space:  global
        .offset:         0
        .size:           8
        .value_kind:     global_buffer
      - .actual_access:  read_only
        .address_space:  global
        .offset:         8
        .size:           8
        .value_kind:     global_buffer
      - .actual_access:  read_only
        .address_space:  global
        .offset:         16
        .size:           8
        .value_kind:     global_buffer
      - .actual_access:  read_only
        .address_space:  global
        .offset:         24
        .size:           8
        .value_kind:     global_buffer
      - .actual_access:  read_only
        .address_space:  global
        .offset:         32
        .size:           8
        .value_kind:     global_buffer
      - .offset:         40
        .size:           8
        .value_kind:     by_value
      - .address_space:  global
        .offset:         48
        .size:           8
        .value_kind:     global_buffer
      - .address_space:  global
        .offset:         56
        .size:           8
        .value_kind:     global_buffer
      - .address_space:  global
        .offset:         64
        .size:           8
        .value_kind:     global_buffer
      - .address_space:  global
        .offset:         72
        .size:           8
        .value_kind:     global_buffer
      - .offset:         80
        .size:           4
        .value_kind:     by_value
      - .address_space:  global
        .offset:         88
        .size:           8
        .value_kind:     global_buffer
      - .address_space:  global
        .offset:         96
        .size:           8
        .value_kind:     global_buffer
    .group_segment_fixed_size: 19584
    .kernarg_segment_align: 8
    .kernarg_segment_size: 104
    .language:       OpenCL C
    .language_version:
      - 2
      - 0
    .max_flat_workgroup_size: 204
    .name:           bluestein_single_back_len1224_dim1_sp_op_CI_CI
    .private_segment_fixed_size: 0
    .sgpr_count:     24
    .sgpr_spill_count: 0
    .symbol:         bluestein_single_back_len1224_dim1_sp_op_CI_CI.kd
    .uniform_work_group_size: 1
    .uses_dynamic_stack: false
    .vgpr_count:     256
    .vgpr_spill_count: 0
    .wavefront_size: 64
amdhsa.target:   amdgcn-amd-amdhsa--gfx906
amdhsa.version:
  - 1
  - 2
...

	.end_amdgpu_metadata
